;; amdgpu-corpus repo=ROCm/rocFFT kind=compiled arch=gfx1201 opt=O3
	.text
	.amdgcn_target "amdgcn-amd-amdhsa--gfx1201"
	.amdhsa_code_object_version 6
	.protected	bluestein_single_back_len1911_dim1_sp_op_CI_CI ; -- Begin function bluestein_single_back_len1911_dim1_sp_op_CI_CI
	.globl	bluestein_single_back_len1911_dim1_sp_op_CI_CI
	.p2align	8
	.type	bluestein_single_back_len1911_dim1_sp_op_CI_CI,@function
bluestein_single_back_len1911_dim1_sp_op_CI_CI: ; @bluestein_single_back_len1911_dim1_sp_op_CI_CI
; %bb.0:
	s_load_b128 s[12:15], s[0:1], 0x28
	v_mul_u32_u24_e32 v1, 0x2d1, v0
	s_mov_b32 s2, exec_lo
	v_mov_b32_e32 v153, 0
	s_delay_alu instid0(VALU_DEP_2) | instskip(NEXT) | instid1(VALU_DEP_1)
	v_lshrrev_b32_e32 v1, 16, v1
	v_add_nc_u32_e32 v152, ttmp9, v1
	s_wait_kmcnt 0x0
	s_delay_alu instid0(VALU_DEP_1)
	v_cmpx_gt_u64_e64 s[12:13], v[152:153]
	s_cbranch_execz .LBB0_15
; %bb.1:
	s_clause 0x1
	s_load_b128 s[4:7], s[0:1], 0x18
	s_load_b64 s[12:13], s[0:1], 0x0
	v_mul_lo_u16 v1, 0x5b, v1
	s_delay_alu instid0(VALU_DEP_1) | instskip(NEXT) | instid1(VALU_DEP_1)
	v_sub_nc_u16 v37, v0, v1
	v_and_b32_e32 v172, 0xffff, v37
	s_wait_kmcnt 0x0
	s_load_b128 s[8:11], s[4:5], 0x0
	s_wait_kmcnt 0x0
	v_mad_co_u64_u32 v[0:1], null, s10, v152, 0
	v_mad_co_u64_u32 v[2:3], null, s8, v172, 0
	s_mul_u64 s[2:3], s[8:9], 0x93
	s_delay_alu instid0(VALU_DEP_1) | instskip(NEXT) | instid1(VALU_DEP_1)
	v_mad_co_u64_u32 v[4:5], null, s11, v152, v[1:2]
	v_mov_b32_e32 v1, v4
	s_delay_alu instid0(VALU_DEP_3)
	v_mad_co_u64_u32 v[5:6], null, s9, v172, v[3:4]
	v_lshlrev_b32_e32 v171, 3, v172
	s_clause 0x3
	global_load_b64 v[163:164], v171, s[12:13]
	global_load_b64 v[165:166], v171, s[12:13] offset:1176
	global_load_b64 v[161:162], v171, s[12:13] offset:2352
	;; [unrolled: 1-line block ×3, first 2 shown]
	v_mov_b32_e32 v3, v5
	v_lshlrev_b64_e32 v[0:1], 3, v[0:1]
	s_clause 0x6
	global_load_b64 v[159:160], v171, s[12:13] offset:4704
	global_load_b64 v[144:145], v171, s[12:13] offset:5880
	;; [unrolled: 1-line block ×7, first 2 shown]
	v_lshlrev_b64_e32 v[2:3], 3, v[2:3]
	v_add_co_u32 v0, vcc_lo, s14, v0
	v_add_co_ci_u32_e32 v1, vcc_lo, s15, v1, vcc_lo
	s_lshl_b64 s[14:15], s[2:3], 3
	s_delay_alu instid0(VALU_DEP_2) | instskip(SKIP_1) | instid1(VALU_DEP_2)
	v_add_co_u32 v0, vcc_lo, v0, v2
	s_wait_alu 0xfffd
	v_add_co_ci_u32_e32 v1, vcc_lo, v1, v3, vcc_lo
	s_wait_alu 0xfffe
	s_delay_alu instid0(VALU_DEP_2) | instskip(SKIP_1) | instid1(VALU_DEP_2)
	v_add_co_u32 v2, vcc_lo, v0, s14
	s_wait_alu 0xfffd
	v_add_co_ci_u32_e32 v3, vcc_lo, s15, v1, vcc_lo
	s_clause 0x1
	global_load_b64 v[9:10], v[0:1], off
	global_load_b64 v[11:12], v[2:3], off
	v_add_co_u32 v4, vcc_lo, v2, s14
	s_wait_alu 0xfffd
	v_add_co_ci_u32_e32 v5, vcc_lo, s15, v3, vcc_lo
	s_delay_alu instid0(VALU_DEP_2) | instskip(SKIP_1) | instid1(VALU_DEP_2)
	v_add_co_u32 v6, vcc_lo, v4, s14
	s_wait_alu 0xfffd
	v_add_co_ci_u32_e32 v7, vcc_lo, s15, v5, vcc_lo
	s_delay_alu instid0(VALU_DEP_2) | instskip(SKIP_1) | instid1(VALU_DEP_2)
	v_add_co_u32 v0, vcc_lo, v6, s14
	s_wait_alu 0xfffd
	v_add_co_ci_u32_e32 v1, vcc_lo, s15, v7, vcc_lo
	s_clause 0x1
	global_load_b64 v[13:14], v[4:5], off
	global_load_b64 v[5:6], v[6:7], off
	v_add_co_u32 v2, vcc_lo, v0, s14
	s_wait_alu 0xfffd
	v_add_co_ci_u32_e32 v3, vcc_lo, s15, v1, vcc_lo
	global_load_b64 v[15:16], v[0:1], off
	v_add_co_u32 v0, vcc_lo, v2, s14
	s_wait_alu 0xfffd
	v_add_co_ci_u32_e32 v1, vcc_lo, s15, v3, vcc_lo
	;; [unrolled: 4-line block ×8, first 2 shown]
	v_cmp_gt_u16_e32 vcc_lo, 56, v37
	s_wait_loadcnt 0x9
	v_dual_mul_f32 v33, v10, v164 :: v_dual_mul_f32 v36, v11, v166
	v_add_nc_u32_e32 v4, 0x800, v171
	global_load_b64 v[153:154], v171, s[12:13] offset:12936
	global_load_b64 v[29:30], v[2:3], off
	global_load_b64 v[155:156], v171, s[12:13] offset:14112
	global_load_b64 v[31:32], v[0:1], off
	v_dual_mul_f32 v7, v9, v164 :: v_dual_add_nc_u32 v8, 0x2400, v171
	v_add_nc_u32_e32 v3, 0x1000, v171
	v_add_nc_u32_e32 v2, 0x1a00, v171
	v_fmac_f32_e32 v33, v9, v163
	s_delay_alu instid0(VALU_DEP_4) | instskip(SKIP_4) | instid1(VALU_DEP_1)
	v_fma_f32 v34, v10, v163, -v7
	v_fma_f32 v36, v12, v165, -v36
	s_load_b64 s[10:11], s[0:1], 0x38
	s_load_b128 s[4:7], s[6:7], 0x0
	v_add_co_u32 v138, s2, s12, v171
	v_add_co_ci_u32_e64 v139, null, s13, 0, s2
	s_wait_loadcnt 0xc
	v_mul_f32_e32 v10, v14, v162
	v_mul_f32_e32 v35, v12, v166
	;; [unrolled: 1-line block ×3, first 2 shown]
	s_wait_loadcnt 0xb
	v_dual_mul_f32 v12, v6, v158 :: v_dual_add_nc_u32 v9, 0x2c00, v171
	v_fmac_f32_e32 v10, v13, v161
	v_fmac_f32_e32 v35, v11, v165
	v_fma_f32 v11, v14, v161, -v7
	v_mul_f32_e32 v7, v5, v158
	v_fmac_f32_e32 v12, v5, v157
	s_wait_loadcnt 0x9
	v_dual_mul_f32 v14, v18, v145 :: v_dual_mul_f32 v5, v16, v160
	s_delay_alu instid0(VALU_DEP_3) | instskip(NEXT) | instid1(VALU_DEP_2)
	v_fma_f32 v13, v6, v157, -v7
	v_fmac_f32_e32 v14, v17, v144
	ds_store_2addr_b64 v171, v[33:34], v[35:36] offset1:147
	v_dual_mul_f32 v34, v17, v145 :: v_dual_mul_f32 v33, v15, v160
	ds_store_2addr_b64 v4, v[10:11], v[12:13] offset0:38 offset1:185
	s_wait_loadcnt 0x7
	v_mul_f32_e32 v12, v22, v151
	v_fmac_f32_e32 v5, v15, v159
	v_fma_f32 v15, v18, v144, -v34
	v_fma_f32 v6, v16, v159, -v33
	v_mul_f32_e32 v10, v20, v149
	v_dual_fmac_f32 v12, v21, v150 :: v_dual_mul_f32 v7, v19, v149
	ds_store_2addr_b64 v3, v[5:6], v[14:15] offset0:76 offset1:223
	v_mul_f32_e32 v6, v21, v151
	s_wait_loadcnt 0x6
	v_dual_fmac_f32 v10, v19, v148 :: v_dual_mul_f32 v5, v24, v141
	v_fma_f32 v11, v20, v148, -v7
	s_wait_loadcnt 0x5
	v_mul_f32_e32 v14, v26, v147
	v_fma_f32 v13, v22, v150, -v6
	v_dual_mul_f32 v6, v23, v141 :: v_dual_mul_f32 v7, v25, v147
	s_wait_loadcnt 0x4
	v_dual_fmac_f32 v5, v23, v140 :: v_dual_mul_f32 v16, v28, v143
	v_fmac_f32_e32 v14, v25, v146
	s_delay_alu instid0(VALU_DEP_3) | instskip(SKIP_2) | instid1(VALU_DEP_1)
	v_fma_f32 v6, v24, v140, -v6
	v_fma_f32 v15, v26, v146, -v7
	v_mul_f32_e32 v7, v27, v143
	v_fma_f32 v17, v28, v142, -v7
	s_wait_loadcnt 0x2
	v_mul_f32_e32 v18, v30, v154
	v_mul_f32_e32 v19, v29, v154
	s_wait_loadcnt 0x0
	v_mul_f32_e32 v21, v31, v156
	v_mul_f32_e32 v20, v32, v156
	v_fmac_f32_e32 v16, v27, v142
	v_fmac_f32_e32 v18, v29, v153
	v_fma_f32 v19, v30, v153, -v19
	v_fma_f32 v21, v32, v155, -v21
	v_fmac_f32_e32 v20, v31, v155
	ds_store_2addr_b64 v2, v[10:11], v[12:13] offset0:50 offset1:197
	ds_store_2addr_b64 v8, v[5:6], v[14:15] offset0:24 offset1:171
	;; [unrolled: 1-line block ×3, first 2 shown]
	ds_store_b64 v171, v[20:21] offset:14112
	s_and_saveexec_b32 s3, vcc_lo
	s_cbranch_execz .LBB0_3
; %bb.2:
	v_mad_co_u64_u32 v[0:1], null, 0xffffcbb8, s8, v[0:1]
	s_mul_i32 s2, s9, 0xffffcbb8
	s_clause 0x3
	global_load_b64 v[14:15], v[138:139], off offset:728
	global_load_b64 v[16:17], v[138:139], off offset:1904
	;; [unrolled: 1-line block ×4, first 2 shown]
	s_wait_alu 0xfffe
	s_sub_co_i32 s2, s2, s8
	s_wait_alu 0xfffe
	v_add_nc_u32_e32 v1, s2, v1
	v_add_co_u32 v5, s2, v0, s14
	s_wait_alu 0xf1ff
	s_delay_alu instid0(VALU_DEP_2) | instskip(NEXT) | instid1(VALU_DEP_2)
	v_add_co_ci_u32_e64 v6, s2, s15, v1, s2
	v_add_co_u32 v10, s2, v5, s14
	global_load_b64 v[0:1], v[0:1], off
	s_wait_alu 0xf1ff
	v_add_co_ci_u32_e64 v11, s2, s15, v6, s2
	v_add_co_u32 v12, s2, v10, s14
	s_wait_alu 0xf1ff
	s_delay_alu instid0(VALU_DEP_2) | instskip(NEXT) | instid1(VALU_DEP_2)
	v_add_co_ci_u32_e64 v13, s2, s15, v11, s2
	v_add_co_u32 v22, s2, v12, s14
	s_wait_alu 0xf1ff
	s_delay_alu instid0(VALU_DEP_2) | instskip(NEXT) | instid1(VALU_DEP_2)
	v_add_co_ci_u32_e64 v23, s2, s15, v13, s2
	v_add_co_u32 v24, s2, v22, s14
	s_wait_alu 0xf1ff
	s_delay_alu instid0(VALU_DEP_2)
	v_add_co_ci_u32_e64 v25, s2, s15, v23, s2
	global_load_b64 v[5:6], v[5:6], off
	global_load_b64 v[10:11], v[10:11], off
	;; [unrolled: 1-line block ×5, first 2 shown]
	v_add_co_u32 v24, s2, v24, s14
	s_wait_alu 0xf1ff
	v_add_co_ci_u32_e64 v25, s2, s15, v25, s2
	s_clause 0x1
	global_load_b64 v[28:29], v[138:139], off offset:5432
	global_load_b64 v[30:31], v[138:139], off offset:6608
	v_add_co_u32 v32, s2, v24, s14
	s_wait_alu 0xf1ff
	v_add_co_ci_u32_e64 v33, s2, s15, v25, s2
	global_load_b64 v[24:25], v[24:25], off
	v_add_co_u32 v34, s2, v32, s14
	s_wait_alu 0xf1ff
	v_add_co_ci_u32_e64 v35, s2, s15, v33, s2
	global_load_b64 v[32:33], v[32:33], off
	v_add_co_u32 v36, s2, v34, s14
	s_wait_alu 0xf1ff
	v_add_co_ci_u32_e64 v37, s2, s15, v35, s2
	s_clause 0x1
	global_load_b64 v[38:39], v[138:139], off offset:7784
	global_load_b64 v[40:41], v[138:139], off offset:8960
	v_add_co_u32 v42, s2, v36, s14
	s_wait_alu 0xf1ff
	v_add_co_ci_u32_e64 v43, s2, s15, v37, s2
	global_load_b64 v[34:35], v[34:35], off
	global_load_b64 v[36:37], v[36:37], off
	s_clause 0x1
	global_load_b64 v[44:45], v[138:139], off offset:10136
	global_load_b64 v[46:47], v[138:139], off offset:11312
	global_load_b64 v[48:49], v[42:43], off
	v_add_co_u32 v42, s2, v42, s14
	s_wait_alu 0xf1ff
	v_add_co_ci_u32_e64 v43, s2, s15, v43, s2
	global_load_b64 v[50:51], v[138:139], off offset:12488
	v_add_co_u32 v52, s2, v42, s14
	s_wait_alu 0xf1ff
	v_add_co_ci_u32_e64 v53, s2, s15, v43, s2
	global_load_b64 v[42:43], v[42:43], off
	s_clause 0x1
	global_load_b64 v[54:55], v[138:139], off offset:13664
	global_load_b64 v[56:57], v[138:139], off offset:14840
	global_load_b64 v[52:53], v[52:53], off
	v_add_nc_u32_e32 v60, 0x1400, v171
	v_add_nc_u32_e32 v62, 0x2600, v171
	;; [unrolled: 1-line block ×3, first 2 shown]
	s_wait_loadcnt 0x15
	v_mul_f32_e32 v58, v1, v15
	v_mul_f32_e32 v59, v0, v15
	s_delay_alu instid0(VALU_DEP_1)
	v_fma_f32 v59, v1, v14, -v59
	s_wait_loadcnt 0x14
	v_mul_f32_e32 v15, v6, v17
	v_mul_f32_e32 v1, v5, v17
	s_wait_loadcnt 0x12
	v_mul_f32_e32 v17, v12, v21
	v_fmac_f32_e32 v58, v0, v14
	v_dual_mul_f32 v0, v11, v19 :: v_dual_fmac_f32 v15, v5, v16
	v_dual_mul_f32 v14, v10, v19 :: v_dual_mul_f32 v5, v13, v21
	s_delay_alu instid0(VALU_DEP_2) | instskip(SKIP_1) | instid1(VALU_DEP_3)
	v_dual_fmac_f32 v0, v10, v18 :: v_dual_add_nc_u32 v7, 0xc00, v171
	v_fma_f32 v16, v6, v16, -v1
	v_fma_f32 v1, v11, v18, -v14
	s_wait_loadcnt 0xe
	v_dual_fmac_f32 v5, v12, v20 :: v_dual_mul_f32 v12, v27, v31
	v_fma_f32 v6, v13, v20, -v17
	v_mul_f32_e32 v11, v22, v29
	ds_store_2addr_b64 v171, v[58:59], v[15:16] offset0:91 offset1:238
	v_dual_mul_f32 v10, v23, v29 :: v_dual_add_nc_u32 v63, 0x3000, v171
	v_fmac_f32_e32 v12, v26, v30
	ds_store_2addr_b64 v7, v[0:1], v[5:6] offset0:1 offset1:148
	v_fmac_f32_e32 v10, v22, v28
	s_wait_loadcnt 0xb
	v_mul_f32_e32 v0, v25, v39
	v_mul_f32_e32 v1, v26, v31
	s_wait_loadcnt 0xa
	v_dual_mul_f32 v6, v24, v39 :: v_dual_mul_f32 v5, v33, v41
	s_wait_loadcnt 0x6
	v_dual_mul_f32 v7, v32, v41 :: v_dual_mul_f32 v16, v37, v47
	v_fmac_f32_e32 v0, v24, v38
	v_fma_f32 v13, v27, v30, -v1
	v_fma_f32 v1, v25, v38, -v6
	s_delay_alu instid0(VALU_DEP_4) | instskip(SKIP_4) | instid1(VALU_DEP_3)
	v_fma_f32 v6, v33, v40, -v7
	s_wait_loadcnt 0x4
	v_dual_mul_f32 v7, v34, v45 :: v_dual_mul_f32 v18, v49, v51
	v_dual_fmac_f32 v5, v32, v40 :: v_dual_mul_f32 v14, v35, v45
	v_mul_f32_e32 v17, v36, v47
	v_fma_f32 v15, v35, v44, -v7
	s_wait_loadcnt 0x2
	v_dual_fmac_f32 v16, v36, v46 :: v_dual_mul_f32 v21, v42, v55
	s_wait_loadcnt 0x0
	v_dual_mul_f32 v7, v48, v51 :: v_dual_mul_f32 v22, v53, v57
	v_mul_f32_e32 v20, v43, v55
	v_fma_f32 v11, v23, v28, -v11
	v_dual_mul_f32 v23, v52, v57 :: v_dual_fmac_f32 v14, v34, v44
	v_fma_f32 v17, v37, v46, -v17
	v_fmac_f32_e32 v18, v48, v50
	v_fma_f32 v19, v49, v50, -v7
	v_fmac_f32_e32 v20, v42, v54
	;; [unrolled: 2-line block ×3, first 2 shown]
	v_fma_f32 v23, v53, v56, -v23
	ds_store_2addr_b64 v60, v[10:11], v[12:13] offset0:39 offset1:186
	ds_store_2addr_b64 v61, v[0:1], v[5:6] offset0:77 offset1:224
	;; [unrolled: 1-line block ×4, first 2 shown]
	ds_store_b64 v171, v[22:23] offset:14840
.LBB0_3:
	s_wait_alu 0xfffe
	s_or_b32 exec_lo, exec_lo, s3
	global_wb scope:SCOPE_SE
	s_wait_dscnt 0x0
	s_wait_kmcnt 0x0
	s_barrier_signal -1
	s_barrier_wait -1
	global_inv scope:SCOPE_SE
	ds_load_2addr_b64 v[44:47], v171 offset1:147
	ds_load_2addr_b64 v[36:39], v4 offset0:38 offset1:185
	ds_load_2addr_b64 v[4:7], v3 offset0:76 offset1:223
	;; [unrolled: 1-line block ×5, first 2 shown]
	ds_load_b64 v[50:51], v171 offset:14112
	s_load_b64 s[0:1], s[0:1], 0x8
	v_mov_b32_e32 v8, 0
	v_mov_b32_e32 v9, 0
                                        ; implicit-def: $vgpr22
                                        ; implicit-def: $vgpr16
                                        ; implicit-def: $vgpr12
                                        ; implicit-def: $vgpr48
                                        ; implicit-def: $vgpr26
                                        ; implicit-def: $vgpr30
	s_and_saveexec_b32 s2, vcc_lo
	s_cbranch_execz .LBB0_5
; %bb.4:
	v_add_nc_u32_e32 v12, 0xc00, v171
	v_add_nc_u32_e32 v13, 0x1400, v171
	;; [unrolled: 1-line block ×5, first 2 shown]
	ds_load_2addr_b64 v[8:11], v171 offset0:91 offset1:238
	ds_load_2addr_b64 v[28:31], v12 offset0:1 offset1:148
	;; [unrolled: 1-line block ×6, first 2 shown]
	ds_load_b64 v[48:49], v171 offset:14840
.LBB0_5:
	s_wait_alu 0xfffe
	s_or_b32 exec_lo, exec_lo, s2
	s_wait_dscnt 0x6
	v_dual_add_f32 v52, v44, v46 :: v_dual_add_f32 v53, v45, v47
	v_add_co_u32 v68, s2, 0x5b, v172
	s_wait_alu 0xf1ff
	v_add_co_ci_u32_e64 v54, null, 0, 0, s2
	s_wait_dscnt 0x5
	v_dual_add_f32 v52, v52, v36 :: v_dual_add_f32 v53, v53, v37
	s_wait_dscnt 0x0
	v_add_f32_e32 v54, v50, v46
	v_dual_sub_f32 v56, v46, v50 :: v_dual_add_f32 v57, v51, v47
	s_delay_alu instid0(VALU_DEP_3) | instskip(SKIP_1) | instid1(VALU_DEP_3)
	v_dual_add_f32 v52, v52, v38 :: v_dual_sub_f32 v55, v47, v51
	v_dual_add_f32 v53, v53, v39 :: v_dual_sub_f32 v84, v10, v48
	v_mul_f32_e32 v59, 0xbf52af12, v56
	s_delay_alu instid0(VALU_DEP_3) | instskip(NEXT) | instid1(VALU_DEP_3)
	v_add_f32_e32 v46, v52, v4
	v_dual_mul_f32 v52, 0xbeedf032, v55 :: v_dual_add_f32 v47, v53, v5
	v_mul_f32_e32 v53, 0xbeedf032, v56
	v_mul_f32_e32 v58, 0xbf52af12, v55
	s_delay_alu instid0(VALU_DEP_4) | instskip(SKIP_2) | instid1(VALU_DEP_4)
	v_add_f32_e32 v46, v46, v6
	v_dual_mul_f32 v60, 0xbf7e222b, v55 :: v_dual_mul_f32 v61, 0xbf7e222b, v56
	v_add_f32_e32 v47, v47, v7
	v_fma_f32 v65, 0x3f116cb1, v54, -v58
	s_delay_alu instid0(VALU_DEP_4)
	v_add_f32_e32 v46, v46, v0
	v_fmamk_f32 v66, v57, 0x3f116cb1, v59
	v_fma_f32 v59, 0x3f116cb1, v57, -v59
	v_add_f32_e32 v47, v47, v1
	v_dual_add_f32 v65, v44, v65 :: v_dual_fmamk_f32 v64, v57, 0x3f62ad3f, v53
	v_dual_mul_f32 v71, 0xbf29c268, v55 :: v_dual_mul_f32 v72, 0xbf29c268, v56
	s_delay_alu instid0(VALU_DEP_3) | instskip(SKIP_2) | instid1(VALU_DEP_4)
	v_add_f32_e32 v47, v47, v3
	v_mul_f32_e32 v62, 0xbf6f5d39, v55
	v_fma_f32 v67, 0x3df6dbef, v54, -v60
	v_fma_f32 v73, 0xbf3f9e67, v54, -v71
	s_delay_alu instid0(VALU_DEP_4) | instskip(SKIP_3) | instid1(VALU_DEP_3)
	v_dual_fmac_f32 v60, 0x3df6dbef, v54 :: v_dual_add_f32 v47, v47, v33
	v_add_f32_e32 v46, v46, v2
	v_dual_fmamk_f32 v74, v57, 0xbf3f9e67, v72 :: v_dual_fmac_f32 v71, 0xbf3f9e67, v54
	v_mul_f32_e32 v55, 0xbe750f2a, v55
	v_dual_add_f32 v47, v47, v35 :: v_dual_add_f32 v46, v46, v32
	v_add_f32_e32 v73, v44, v73
	v_add_f32_e32 v60, v44, v60
	s_delay_alu instid0(VALU_DEP_3) | instskip(NEXT) | instid1(VALU_DEP_4)
	v_dual_sub_f32 v76, v37, v43 :: v_dual_add_f32 v47, v47, v41
	v_dual_add_f32 v46, v46, v34 :: v_dual_add_f32 v59, v45, v59
	v_fma_f32 v63, 0x3f62ad3f, v54, -v52
	s_delay_alu instid0(VALU_DEP_3) | instskip(NEXT) | instid1(VALU_DEP_3)
	v_dual_fmac_f32 v52, 0x3f62ad3f, v54 :: v_dual_add_f32 v47, v47, v43
	v_add_f32_e32 v46, v46, v40
	v_dual_mul_f32 v69, 0xbf6f5d39, v56 :: v_dual_add_f32 v74, v45, v74
	v_add_f32_e32 v37, v43, v37
	v_fma_f32 v75, 0xbf788fa5, v54, -v55
	s_delay_alu instid0(VALU_DEP_4) | instskip(NEXT) | instid1(VALU_DEP_4)
	v_add_f32_e32 v46, v46, v42
	v_dual_fmamk_f32 v70, v57, 0xbeb58ec6, v69 :: v_dual_add_f32 v71, v44, v71
	v_dual_add_f32 v78, v42, v36 :: v_dual_fmac_f32 v55, 0xbf788fa5, v54
	s_delay_alu instid0(VALU_DEP_2)
	v_dual_mul_f32 v79, 0xbf52af12, v76 :: v_dual_add_f32 v70, v45, v70
	v_fma_f32 v53, 0x3f62ad3f, v57, -v53
	v_dual_fmac_f32 v58, 0x3f116cb1, v54 :: v_dual_add_f32 v63, v44, v63
	v_dual_add_f32 v64, v45, v64 :: v_dual_add_f32 v47, v47, v51
	v_dual_add_f32 v52, v44, v52 :: v_dual_fmamk_f32 v51, v57, 0x3df6dbef, v61
	v_fma_f32 v61, 0x3df6dbef, v57, -v61
	v_add_f32_e32 v46, v46, v50
	v_fma_f32 v69, 0xbeb58ec6, v57, -v69
	v_add_f32_e32 v50, v44, v67
	v_fma_f32 v67, 0xbeb58ec6, v54, -v62
	v_dual_fmac_f32 v62, 0xbeb58ec6, v54 :: v_dual_add_f32 v75, v44, v75
	v_sub_f32_e32 v36, v36, v42
	v_fma_f32 v43, 0x3f116cb1, v78, -v79
	v_dual_mul_f32 v56, 0xbe750f2a, v56 :: v_dual_add_f32 v53, v45, v53
	v_dual_add_f32 v66, v45, v66 :: v_dual_add_f32 v67, v44, v67
	v_dual_add_f32 v58, v44, v58 :: v_dual_add_f32 v51, v45, v51
	v_fma_f32 v72, 0xbf3f9e67, v57, -v72
	v_dual_add_f32 v43, v43, v63 :: v_dual_add_f32 v62, v44, v62
	v_fmamk_f32 v77, v57, 0xbf788fa5, v56
	v_fma_f32 v42, 0xbf788fa5, v57, -v56
	v_dual_add_f32 v44, v44, v55 :: v_dual_mul_f32 v55, 0xbf6f5d39, v76
	v_dual_mul_f32 v54, 0xbf52af12, v36 :: v_dual_add_f32 v61, v45, v61
	v_add_f32_e32 v69, v45, v69
	v_add_f32_e32 v72, v45, v72
	v_dual_add_f32 v56, v45, v77 :: v_dual_mul_f32 v57, 0xbf6f5d39, v36
	v_add_f32_e32 v42, v45, v42
	v_fmamk_f32 v45, v37, 0x3f116cb1, v54
	v_fma_f32 v63, 0xbeb58ec6, v78, -v55
	v_fmac_f32_e32 v79, 0x3f116cb1, v78
	v_fmac_f32_e32 v55, 0xbeb58ec6, v78
	v_mul_f32_e32 v77, 0x3f29c268, v36
	v_add_f32_e32 v45, v45, v64
	v_add_f32_e32 v63, v63, v65
	v_fma_f32 v54, 0x3f116cb1, v37, -v54
	v_add_f32_e32 v52, v79, v52
	v_dual_add_f32 v55, v55, v58 :: v_dual_mul_f32 v58, 0x3f29c268, v76
	v_dual_sub_f32 v109, v27, v17 :: v_dual_sub_f32 v120, v20, v22
	s_delay_alu instid0(VALU_DEP_4)
	v_dual_add_f32 v53, v54, v53 :: v_dual_fmamk_f32 v54, v37, 0xbeb58ec6, v57
	v_fma_f32 v57, 0xbeb58ec6, v37, -v57
	v_mul_f32_e32 v64, 0xbe750f2a, v76
	global_wb scope:SCOPE_SE
	s_wait_kmcnt 0x0
	s_barrier_signal -1
	v_add_f32_e32 v54, v54, v66
	v_dual_mul_f32 v66, 0xbe750f2a, v36 :: v_dual_add_f32 v57, v57, v59
	v_fma_f32 v65, 0xbf788fa5, v78, -v64
	v_fmac_f32_e32 v64, 0xbf788fa5, v78
	s_barrier_wait -1
	s_delay_alu instid0(VALU_DEP_3)
	v_fmamk_f32 v59, v37, 0xbf788fa5, v66
	global_inv scope:SCOPE_SE
	v_add_f32_e32 v50, v65, v50
	v_dual_sub_f32 v86, v29, v15 :: v_dual_sub_f32 v93, v28, v14
	v_add_f32_e32 v51, v59, v51
	v_fma_f32 v65, 0xbf788fa5, v37, -v66
	v_dual_add_f32 v59, v64, v60 :: v_dual_fmamk_f32 v64, v37, 0xbf3f9e67, v77
	v_fma_f32 v66, 0xbf3f9e67, v78, -v58
	v_sub_f32_e32 v97, v31, v13
	s_delay_alu instid0(VALU_DEP_4) | instskip(NEXT) | instid1(VALU_DEP_3)
	v_dual_add_f32 v60, v65, v61 :: v_dual_mul_f32 v65, 0x3f7e222b, v76
	v_dual_add_f32 v64, v64, v70 :: v_dual_add_f32 v61, v66, v67
	v_fma_f32 v67, 0xbf3f9e67, v37, -v77
	v_mul_f32_e32 v66, 0x3f7e222b, v36
	s_delay_alu instid0(VALU_DEP_4) | instskip(SKIP_1) | instid1(VALU_DEP_4)
	v_fma_f32 v70, 0x3df6dbef, v78, -v65
	v_fmac_f32_e32 v65, 0x3df6dbef, v78
	v_dual_fmac_f32 v58, 0xbf3f9e67, v78 :: v_dual_add_f32 v67, v67, v69
	s_delay_alu instid0(VALU_DEP_3) | instskip(NEXT) | instid1(VALU_DEP_2)
	v_dual_mul_f32 v69, 0x3eedf032, v76 :: v_dual_add_f32 v70, v70, v73
	v_dual_add_f32 v65, v65, v71 :: v_dual_add_f32 v58, v58, v62
	v_fmamk_f32 v62, v37, 0x3df6dbef, v66
	v_fma_f32 v66, 0x3df6dbef, v37, -v66
	s_delay_alu instid0(VALU_DEP_4) | instskip(SKIP_1) | instid1(VALU_DEP_4)
	v_fma_f32 v73, 0x3f62ad3f, v78, -v69
	v_dual_mul_f32 v36, 0x3eedf032, v36 :: v_dual_sub_f32 v71, v39, v41
	v_add_f32_e32 v62, v62, v74
	s_delay_alu instid0(VALU_DEP_4) | instskip(NEXT) | instid1(VALU_DEP_4)
	v_add_f32_e32 v66, v66, v72
	v_dual_add_f32 v72, v73, v75 :: v_dual_fmac_f32 v69, 0x3f62ad3f, v78
	s_delay_alu instid0(VALU_DEP_4) | instskip(SKIP_3) | instid1(VALU_DEP_4)
	v_dual_fmamk_f32 v73, v37, 0x3f62ad3f, v36 :: v_dual_add_f32 v74, v40, v38
	v_dual_mul_f32 v75, 0xbf7e222b, v71 :: v_dual_sub_f32 v38, v38, v40
	v_fma_f32 v36, 0x3f62ad3f, v37, -v36
	v_add_f32_e32 v37, v41, v39
	v_add_f32_e32 v41, v73, v56
	s_delay_alu instid0(VALU_DEP_4) | instskip(SKIP_3) | instid1(VALU_DEP_4)
	v_fma_f32 v39, 0x3df6dbef, v74, -v75
	v_dual_add_f32 v44, v69, v44 :: v_dual_fmac_f32 v75, 0x3df6dbef, v74
	v_mul_f32_e32 v69, 0x3f6f5d39, v71
	v_dual_mul_f32 v87, 0x3f7e222b, v86 :: v_dual_mul_f32 v92, 0x3f7e222b, v93
	v_add_f32_e32 v39, v39, v43
	v_mul_f32_e32 v43, 0xbe750f2a, v71
	v_mul_f32_e32 v40, 0xbf7e222b, v38
	;; [unrolled: 1-line block ×3, first 2 shown]
	v_add_f32_e32 v36, v36, v42
	v_dual_add_f32 v52, v75, v52 :: v_dual_mul_f32 v73, 0x3eedf032, v38
	s_delay_alu instid0(VALU_DEP_4) | instskip(SKIP_2) | instid1(VALU_DEP_3)
	v_fmamk_f32 v42, v37, 0x3df6dbef, v40
	v_dual_mul_f32 v98, 0xbf52af12, v97 :: v_dual_sub_f32 v105, v25, v19
	v_dual_sub_f32 v103, v30, v12 :: v_dual_mul_f32 v82, 0x3eedf032, v97
	v_add_f32_e32 v42, v42, v45
	v_fma_f32 v45, 0xbf788fa5, v74, -v43
	v_fmac_f32_e32 v43, 0xbf788fa5, v74
	v_dual_mul_f32 v108, 0x3e750f2a, v105 :: v_dual_sub_f32 v117, v26, v16
	v_mul_f32_e32 v80, 0x3f6f5d39, v103
	s_delay_alu instid0(VALU_DEP_4) | instskip(NEXT) | instid1(VALU_DEP_4)
	v_add_f32_e32 v45, v45, v63
	v_add_f32_e32 v43, v43, v55
	v_fma_f32 v40, 0x3df6dbef, v37, -v40
	v_mul_f32_e32 v85, 0x3eedf032, v103
	v_mul_f32_e32 v115, 0x3eedf032, v117
	v_dual_mul_f32 v106, 0x3e750f2a, v117 :: v_dual_sub_f32 v111, v24, v18
	s_delay_alu instid0(VALU_DEP_4) | instskip(SKIP_2) | instid1(VALU_DEP_4)
	v_dual_add_f32 v40, v40, v53 :: v_dual_fmamk_f32 v53, v37, 0xbf788fa5, v56
	v_mul_f32_e32 v94, 0xbf7e222b, v105
	v_mul_f32_e32 v102, 0xbf52af12, v103
	;; [unrolled: 1-line block ×3, first 2 shown]
	s_delay_alu instid0(VALU_DEP_4) | instskip(SKIP_4) | instid1(VALU_DEP_4)
	v_dual_mul_f32 v78, 0x3eedf032, v105 :: v_dual_add_f32 v53, v53, v54
	v_fma_f32 v54, 0xbeb58ec6, v74, -v69
	v_fmac_f32_e32 v69, 0xbeb58ec6, v74
	v_dual_mul_f32 v63, 0x3f6f5d39, v38 :: v_dual_sub_f32 v116, v21, v23
	v_mul_f32_e32 v96, 0xbf7e222b, v111
	v_add_f32_e32 v50, v54, v50
	v_mul_f32_e32 v90, 0xbf52af12, v109
	s_delay_alu instid0(VALU_DEP_4) | instskip(SKIP_1) | instid1(VALU_DEP_2)
	v_fmamk_f32 v54, v37, 0xbeb58ec6, v63
	v_mul_f32_e32 v110, 0x3e750f2a, v111
	v_dual_mul_f32 v100, 0xbf52af12, v117 :: v_dual_add_f32 v51, v54, v51
	v_fma_f32 v56, 0xbf788fa5, v37, -v56
	v_add_f32_e32 v54, v69, v59
	v_fma_f32 v69, 0x3f62ad3f, v37, -v73
	s_delay_alu instid0(VALU_DEP_3) | instskip(SKIP_1) | instid1(VALU_DEP_3)
	v_dual_add_f32 v55, v56, v57 :: v_dual_mul_f32 v56, 0x3eedf032, v71
	v_fma_f32 v57, 0xbeb58ec6, v37, -v63
	v_add_f32_e32 v67, v69, v67
	v_mul_f32_e32 v69, 0xbf29c268, v71
	s_delay_alu instid0(VALU_DEP_4) | instskip(NEXT) | instid1(VALU_DEP_4)
	v_fma_f32 v63, 0x3f62ad3f, v74, -v56
	v_dual_fmac_f32 v56, 0x3f62ad3f, v74 :: v_dual_add_f32 v57, v57, v60
	s_delay_alu instid0(VALU_DEP_2) | instskip(SKIP_1) | instid1(VALU_DEP_3)
	v_add_f32_e32 v59, v63, v61
	v_mul_f32_e32 v63, 0xbf52af12, v38
	v_dual_mul_f32 v61, 0xbf52af12, v71 :: v_dual_add_f32 v56, v56, v58
	v_mul_f32_e32 v38, 0xbf29c268, v38
	s_delay_alu instid0(VALU_DEP_3) | instskip(NEXT) | instid1(VALU_DEP_1)
	v_fmamk_f32 v58, v37, 0x3f116cb1, v63
	v_add_f32_e32 v58, v58, v62
	v_fma_f32 v62, 0x3f116cb1, v37, -v63
	v_fma_f32 v63, 0xbf3f9e67, v74, -v69
	v_fmamk_f32 v60, v37, 0x3f62ad3f, v73
	s_delay_alu instid0(VALU_DEP_2) | instskip(NEXT) | instid1(VALU_DEP_2)
	v_dual_add_f32 v62, v62, v66 :: v_dual_add_f32 v63, v63, v72
	v_add_f32_e32 v60, v60, v64
	v_fma_f32 v64, 0x3f116cb1, v74, -v61
	v_mul_f32_e32 v72, 0x3f29c268, v86
	s_delay_alu instid0(VALU_DEP_2) | instskip(SKIP_4) | instid1(VALU_DEP_4)
	v_add_f32_e32 v64, v64, v70
	v_dual_fmamk_f32 v66, v37, 0xbf3f9e67, v38 :: v_dual_fmac_f32 v69, 0xbf3f9e67, v74
	v_dual_fmac_f32 v61, 0x3f116cb1, v74 :: v_dual_add_f32 v70, v34, v4
	v_sub_f32_e32 v4, v4, v34
	v_fma_f32 v34, 0xbf3f9e67, v37, -v38
	v_dual_add_f32 v38, v66, v41 :: v_dual_add_f32 v41, v69, v44
	s_delay_alu instid0(VALU_DEP_4)
	v_add_f32_e32 v61, v61, v65
	v_sub_f32_e32 v65, v5, v35
	v_add_f32_e32 v5, v35, v5
	v_mul_f32_e32 v37, 0xbf6f5d39, v4
	v_mul_f32_e32 v44, 0x3f29c268, v4
	v_sub_f32_e32 v74, v11, v49
	v_mul_f32_e32 v71, 0xbf6f5d39, v65
	v_mul_f32_e32 v66, 0x3eedf032, v65
	s_delay_alu instid0(VALU_DEP_3) | instskip(NEXT) | instid1(VALU_DEP_3)
	v_mul_f32_e32 v75, 0xbf29c268, v74
	v_fma_f32 v35, 0xbeb58ec6, v70, -v71
	v_add_f32_e32 v34, v34, v36
	s_delay_alu instid0(VALU_DEP_2) | instskip(NEXT) | instid1(VALU_DEP_1)
	v_dual_fmamk_f32 v36, v5, 0xbeb58ec6, v37 :: v_dual_add_f32 v35, v35, v39
	v_dual_mul_f32 v39, 0x3f29c268, v65 :: v_dual_add_f32 v36, v36, v42
	v_fma_f32 v37, 0xbeb58ec6, v5, -v37
	s_delay_alu instid0(VALU_DEP_2) | instskip(SKIP_1) | instid1(VALU_DEP_3)
	v_fma_f32 v42, 0xbf3f9e67, v70, -v39
	v_fmac_f32_e32 v71, 0xbeb58ec6, v70
	v_add_f32_e32 v37, v37, v40
	v_dual_fmamk_f32 v40, v5, 0xbf3f9e67, v44 :: v_dual_fmac_f32 v39, 0xbf3f9e67, v70
	s_delay_alu instid0(VALU_DEP_4) | instskip(NEXT) | instid1(VALU_DEP_4)
	v_add_f32_e32 v42, v42, v45
	v_add_f32_e32 v52, v71, v52
	v_fma_f32 v44, 0xbf3f9e67, v5, -v44
	v_fma_f32 v45, 0x3f62ad3f, v70, -v66
	v_dual_add_f32 v39, v39, v43 :: v_dual_fmac_f32 v66, 0x3f62ad3f, v70
	s_delay_alu instid0(VALU_DEP_3) | instskip(SKIP_1) | instid1(VALU_DEP_4)
	v_add_f32_e32 v43, v44, v55
	v_dual_add_f32 v40, v40, v53 :: v_dual_mul_f32 v53, 0x3eedf032, v4
	v_dual_mul_f32 v44, 0xbf7e222b, v65 :: v_dual_add_f32 v45, v45, v50
	s_delay_alu instid0(VALU_DEP_2) | instskip(SKIP_1) | instid1(VALU_DEP_3)
	v_fmamk_f32 v50, v5, 0x3f62ad3f, v53
	v_fma_f32 v53, 0x3f62ad3f, v5, -v53
	v_fma_f32 v55, 0x3df6dbef, v70, -v44
	s_delay_alu instid0(VALU_DEP_3) | instskip(NEXT) | instid1(VALU_DEP_3)
	v_dual_mul_f32 v69, 0xbf7e222b, v4 :: v_dual_add_f32 v50, v50, v51
	v_add_f32_e32 v53, v53, v57
	s_delay_alu instid0(VALU_DEP_3) | instskip(NEXT) | instid1(VALU_DEP_3)
	v_dual_add_f32 v51, v66, v54 :: v_dual_add_f32 v54, v55, v59
	v_dual_fmamk_f32 v55, v5, 0x3df6dbef, v69 :: v_dual_fmac_f32 v44, 0x3df6dbef, v70
	v_fma_f32 v66, 0x3df6dbef, v5, -v69
	v_mul_f32_e32 v59, 0x3e750f2a, v4
	v_mul_f32_e32 v69, 0xbe750f2a, v93
	s_delay_alu instid0(VALU_DEP_4) | instskip(SKIP_4) | instid1(VALU_DEP_4)
	v_add_f32_e32 v55, v55, v60
	v_dual_mul_f32 v57, 0x3e750f2a, v65 :: v_dual_add_f32 v44, v44, v56
	v_add_f32_e32 v66, v66, v67
	v_fmamk_f32 v56, v5, 0xbf788fa5, v59
	v_mul_f32_e32 v67, 0x3f6f5d39, v97
	v_fma_f32 v60, 0xbf788fa5, v70, -v57
	v_mul_f32_e32 v65, 0x3f52af12, v65
	v_fmac_f32_e32 v57, 0xbf788fa5, v70
	v_mul_f32_e32 v4, 0x3f52af12, v4
	s_delay_alu instid0(VALU_DEP_2) | instskip(SKIP_3) | instid1(VALU_DEP_1)
	v_dual_add_f32 v60, v60, v64 :: v_dual_add_f32 v57, v57, v61
	v_dual_sub_f32 v61, v7, v33 :: v_dual_add_f32 v56, v56, v58
	v_fma_f32 v58, 0xbf788fa5, v5, -v59
	v_fma_f32 v59, 0x3f116cb1, v70, -v65
	v_dual_add_f32 v58, v58, v62 :: v_dual_add_f32 v59, v59, v63
	v_dual_fmamk_f32 v62, v5, 0x3f116cb1, v4 :: v_dual_add_f32 v63, v32, v6
	v_mul_f32_e32 v64, 0xbf29c268, v61
	v_sub_f32_e32 v6, v6, v32
	v_fma_f32 v4, 0x3f116cb1, v5, -v4
	v_add_f32_e32 v5, v33, v7
	v_add_f32_e32 v33, v62, v38
	v_fma_f32 v7, 0xbf3f9e67, v63, -v64
	v_mul_f32_e32 v32, 0xbf29c268, v6
	s_delay_alu instid0(VALU_DEP_2) | instskip(SKIP_1) | instid1(VALU_DEP_3)
	v_dual_add_f32 v4, v4, v34 :: v_dual_add_f32 v7, v7, v35
	v_mul_f32_e32 v35, 0x3f7e222b, v61
	v_fmamk_f32 v34, v5, 0xbf3f9e67, v32
	v_fmac_f32_e32 v65, 0x3f116cb1, v70
	v_fma_f32 v32, 0xbf3f9e67, v5, -v32
	s_delay_alu instid0(VALU_DEP_3) | instskip(NEXT) | instid1(VALU_DEP_3)
	v_add_f32_e32 v34, v34, v36
	v_dual_add_f32 v38, v65, v41 :: v_dual_mul_f32 v41, 0x3f7e222b, v6
	s_delay_alu instid0(VALU_DEP_3) | instskip(SKIP_2) | instid1(VALU_DEP_4)
	v_add_f32_e32 v32, v32, v37
	v_fma_f32 v36, 0x3df6dbef, v63, -v35
	v_fmac_f32_e32 v35, 0x3df6dbef, v63
	v_fmamk_f32 v37, v5, 0x3df6dbef, v41
	v_fmac_f32_e32 v64, 0xbf3f9e67, v63
	v_fma_f32 v41, 0x3df6dbef, v5, -v41
	v_mul_f32_e32 v62, 0xbf52af12, v61
	s_delay_alu instid0(VALU_DEP_4) | instskip(NEXT) | instid1(VALU_DEP_4)
	v_dual_add_f32 v36, v36, v42 :: v_dual_add_f32 v37, v37, v40
	v_add_f32_e32 v52, v64, v52
	v_dual_mul_f32 v42, 0xbf52af12, v6 :: v_dual_add_f32 v35, v35, v39
	v_add_f32_e32 v39, v41, v43
	v_fma_f32 v40, 0x3f116cb1, v63, -v62
	v_mul_f32_e32 v41, 0x3e750f2a, v61
	s_delay_alu instid0(VALU_DEP_4) | instskip(SKIP_1) | instid1(VALU_DEP_4)
	v_fmamk_f32 v43, v5, 0x3f116cb1, v42
	v_fmac_f32_e32 v62, 0x3f116cb1, v63
	v_add_f32_e32 v40, v40, v45
	s_delay_alu instid0(VALU_DEP_4) | instskip(SKIP_3) | instid1(VALU_DEP_4)
	v_fma_f32 v45, 0xbf788fa5, v63, -v41
	v_fmac_f32_e32 v41, 0xbf788fa5, v63
	v_mul_f32_e32 v64, 0x3e750f2a, v6
	v_dual_add_f32 v43, v43, v50 :: v_dual_add_f32 v50, v62, v51
	v_add_f32_e32 v45, v45, v54
	s_delay_alu instid0(VALU_DEP_4) | instskip(NEXT) | instid1(VALU_DEP_4)
	v_add_f32_e32 v41, v41, v44
	v_fma_f32 v54, 0xbf788fa5, v5, -v64
	v_fmamk_f32 v51, v5, 0xbf788fa5, v64
	v_mul_f32_e32 v62, 0x3eedf032, v6
	v_mul_f32_e32 v6, 0xbf6f5d39, v6
	;; [unrolled: 1-line block ×3, first 2 shown]
	s_delay_alu instid0(VALU_DEP_4) | instskip(SKIP_1) | instid1(VALU_DEP_1)
	v_dual_add_f32 v44, v54, v66 :: v_dual_add_f32 v51, v51, v55
	v_fma_f32 v42, 0x3f116cb1, v5, -v42
	v_add_f32_e32 v42, v42, v53
	v_mul_f32_e32 v53, 0x3eedf032, v61
	v_fmamk_f32 v54, v5, 0x3f62ad3f, v62
	v_mul_f32_e32 v61, 0xbf6f5d39, v61
	s_delay_alu instid0(VALU_DEP_3) | instskip(NEXT) | instid1(VALU_DEP_3)
	v_fma_f32 v55, 0x3f62ad3f, v63, -v53
	v_dual_fmac_f32 v53, 0x3f62ad3f, v63 :: v_dual_add_f32 v54, v54, v56
	s_delay_alu instid0(VALU_DEP_3) | instskip(SKIP_1) | instid1(VALU_DEP_4)
	v_fma_f32 v56, 0xbeb58ec6, v63, -v61
	v_fmac_f32_e32 v61, 0xbeb58ec6, v63
	v_add_f32_e32 v55, v55, v60
	v_fma_f32 v60, 0x3f62ad3f, v5, -v62
	s_delay_alu instid0(VALU_DEP_4) | instskip(SKIP_2) | instid1(VALU_DEP_4)
	v_dual_add_f32 v53, v53, v57 :: v_dual_add_f32 v56, v56, v59
	v_fmamk_f32 v59, v5, 0xbeb58ec6, v6
	v_fma_f32 v5, 0xbeb58ec6, v5, -v6
	v_dual_add_f32 v57, v60, v58 :: v_dual_sub_f32 v58, v1, v3
	v_add_f32_e32 v60, v2, v0
	v_dual_sub_f32 v0, v0, v2 :: v_dual_add_f32 v1, v3, v1
	s_delay_alu instid0(VALU_DEP_4) | instskip(NEXT) | instid1(VALU_DEP_2)
	v_dual_add_f32 v59, v59, v33 :: v_dual_add_f32 v4, v5, v4
	v_dual_mul_f32 v2, 0xbe750f2a, v58 :: v_dual_mul_f32 v3, 0xbe750f2a, v0
	v_add_f32_e32 v61, v61, v38
	v_add_f32_e32 v33, v49, v11
	v_mul_f32_e32 v65, 0xbf6f5d39, v84
	s_delay_alu instid0(VALU_DEP_4) | instskip(SKIP_1) | instid1(VALU_DEP_2)
	v_fma_f32 v6, 0xbf788fa5, v60, -v2
	v_dual_fmamk_f32 v5, v1, 0xbf788fa5, v3 :: v_dual_fmac_f32 v2, 0xbf788fa5, v60
	v_dual_add_f32 v121, v6, v7 :: v_dual_mul_f32 v6, 0x3eedf032, v58
	s_delay_alu instid0(VALU_DEP_2) | instskip(SKIP_4) | instid1(VALU_DEP_3)
	v_add_f32_e32 v122, v5, v34
	v_fma_f32 v3, 0xbf788fa5, v1, -v3
	v_mul_f32_e32 v5, 0x3eedf032, v0
	v_dual_add_f32 v123, v2, v52 :: v_dual_mul_f32 v2, 0xbf29c268, v58
	v_fma_f32 v7, 0x3f62ad3f, v60, -v6
	v_dual_add_f32 v124, v3, v32 :: v_dual_fmamk_f32 v3, v1, 0x3f62ad3f, v5
	v_fmac_f32_e32 v6, 0x3f62ad3f, v60
	v_add_f32_e32 v34, v14, v28
	s_delay_alu instid0(VALU_DEP_3) | instskip(SKIP_3) | instid1(VALU_DEP_4)
	v_dual_add_f32 v126, v3, v37 :: v_dual_mul_f32 v3, 0xbf29c268, v0
	v_fma_f32 v5, 0x3f62ad3f, v1, -v5
	v_add_f32_e32 v125, v7, v36
	v_fma_f32 v7, 0xbf3f9e67, v60, -v2
	v_dual_add_f32 v127, v6, v35 :: v_dual_fmamk_f32 v6, v1, 0xbf3f9e67, v3
	v_fmac_f32_e32 v2, 0xbf3f9e67, v60
	s_delay_alu instid0(VALU_DEP_3) | instskip(NEXT) | instid1(VALU_DEP_3)
	v_dual_add_f32 v128, v5, v39 :: v_dual_add_f32 v129, v7, v40
	v_dual_add_f32 v35, v15, v29 :: v_dual_add_f32 v130, v6, v43
	v_fma_f32 v3, 0xbf3f9e67, v1, -v3
	v_mul_f32_e32 v7, 0x3f52af12, v0
	v_dual_add_f32 v131, v2, v50 :: v_dual_mul_f32 v50, 0xbf52af12, v84
	v_mul_f32_e32 v40, 0xbf52af12, v86
	s_delay_alu instid0(VALU_DEP_4) | instskip(NEXT) | instid1(VALU_DEP_4)
	v_add_f32_e32 v132, v3, v42
	v_fmamk_f32 v2, v1, 0x3f116cb1, v7
	v_mul_f32_e32 v5, 0x3f52af12, v58
	v_fma_f32 v6, 0x3f116cb1, v1, -v7
	v_mul_f32_e32 v3, 0xbf6f5d39, v58
	v_mul_f32_e32 v42, 0xbf52af12, v93
	v_add_f32_e32 v134, v2, v51
	v_mul_f32_e32 v2, 0xbf6f5d39, v0
	v_fma_f32 v32, 0x3f116cb1, v60, -v5
	v_add_f32_e32 v136, v6, v44
	v_mul_f32_e32 v6, 0x3f7e222b, v58
	v_mul_f32_e32 v0, 0x3f7e222b, v0
	v_fmamk_f32 v7, v1, 0xbeb58ec6, v2
	v_fmac_f32_e32 v5, 0x3f116cb1, v60
	v_fma_f32 v2, 0xbeb58ec6, v1, -v2
	v_add_f32_e32 v133, v32, v45
	v_mul_f32_e32 v58, 0xbf6f5d39, v93
	s_delay_alu instid0(VALU_DEP_4)
	v_dual_add_f32 v170, v7, v54 :: v_dual_add_f32 v135, v5, v41
	v_fma_f32 v5, 0xbeb58ec6, v60, -v3
	v_fmac_f32_e32 v3, 0xbeb58ec6, v60
	v_fma_f32 v7, 0xbeb58ec6, v33, -v65
	v_mul_f32_e32 v52, 0xbf7e222b, v74
	v_fmamk_f32 v43, v34, 0x3f116cb1, v40
	v_add_f32_e32 v169, v5, v55
	v_fma_f32 v5, 0x3df6dbef, v60, -v6
	v_dual_add_f32 v175, v2, v57 :: v_dual_fmamk_f32 v2, v1, 0x3df6dbef, v0
	v_fma_f32 v0, 0x3df6dbef, v1, -v0
	v_add_f32_e32 v174, v3, v53
	s_delay_alu instid0(VALU_DEP_4) | instskip(SKIP_4) | instid1(VALU_DEP_4)
	v_add_f32_e32 v178, v5, v56
	v_fma_f32 v3, 0x3f116cb1, v33, -v50
	v_mul_f32_e32 v38, 0xbeedf032, v84
	v_add_f32_e32 v181, v0, v4
	v_dual_add_f32 v32, v48, v10 :: v_dual_add_f32 v179, v2, v59
	v_add_f32_e32 v3, v3, v9
	s_delay_alu instid0(VALU_DEP_4) | instskip(SKIP_1) | instid1(VALU_DEP_4)
	v_fma_f32 v2, 0x3f62ad3f, v33, -v38
	v_mul_f32_e32 v36, 0xbeedf032, v74
	v_fmamk_f32 v37, v32, 0xbf3f9e67, v75
	v_mul_f32_e32 v53, 0xbf6f5d39, v86
	v_add_f32_e32 v7, v7, v9
	v_fma_f32 v44, 0x3f116cb1, v35, -v42
	s_delay_alu instid0(VALU_DEP_3) | instskip(SKIP_1) | instid1(VALU_DEP_1)
	v_dual_add_f32 v54, v37, v8 :: v_dual_fmamk_f32 v37, v34, 0xbeb58ec6, v53
	v_mul_f32_e32 v81, 0xbf29c268, v84
	v_fma_f32 v39, 0xbf3f9e67, v33, -v81
	s_delay_alu instid0(VALU_DEP_1) | instskip(NEXT) | instid1(VALU_DEP_1)
	v_dual_mul_f32 v56, 0xbf7e222b, v84 :: v_dual_add_f32 v55, v39, v9
	v_fma_f32 v5, 0x3df6dbef, v33, -v56
	v_fmac_f32_e32 v6, 0x3df6dbef, v60
	v_mul_f32_e32 v60, 0xbe750f2a, v86
	v_mul_f32_e32 v76, 0x3f29c268, v93
	s_delay_alu instid0(VALU_DEP_4) | instskip(NEXT) | instid1(VALU_DEP_4)
	v_add_f32_e32 v5, v5, v9
	v_dual_fmamk_f32 v1, v32, 0x3f62ad3f, v36 :: v_dual_add_f32 v180, v6, v61
	s_delay_alu instid0(VALU_DEP_1) | instskip(NEXT) | instid1(VALU_DEP_1)
	v_dual_mul_f32 v41, 0xbf52af12, v74 :: v_dual_add_f32 v0, v1, v8
	v_dual_add_f32 v1, v2, v9 :: v_dual_fmamk_f32 v2, v32, 0x3f116cb1, v41
	s_delay_alu instid0(VALU_DEP_2) | instskip(SKIP_1) | instid1(VALU_DEP_3)
	v_dual_mul_f32 v61, 0xbf6f5d39, v74 :: v_dual_add_f32 v0, v43, v0
	v_fma_f32 v43, 0xbf788fa5, v35, -v69
	v_add_f32_e32 v2, v2, v8
	s_delay_alu instid0(VALU_DEP_3) | instskip(SKIP_1) | instid1(VALU_DEP_3)
	v_fmamk_f32 v6, v32, 0xbeb58ec6, v61
	v_add_f32_e32 v1, v44, v1
	v_dual_add_f32 v5, v43, v5 :: v_dual_add_f32 v2, v37, v2
	v_fma_f32 v37, 0xbeb58ec6, v35, -v58
	v_fmamk_f32 v4, v32, 0x3df6dbef, v52
	v_add_f32_e32 v6, v6, v8
	v_fmamk_f32 v39, v34, 0xbf788fa5, v60
	v_fma_f32 v43, 0xbf3f9e67, v35, -v76
	s_delay_alu instid0(VALU_DEP_4) | instskip(SKIP_1) | instid1(VALU_DEP_3)
	v_dual_add_f32 v3, v37, v3 :: v_dual_add_f32 v4, v4, v8
	v_dual_add_f32 v37, v12, v30 :: v_dual_mul_f32 v62, 0xbe750f2a, v97
	v_add_f32_e32 v7, v43, v7
	s_delay_alu instid0(VALU_DEP_3) | instskip(SKIP_1) | instid1(VALU_DEP_2)
	v_dual_add_f32 v4, v39, v4 :: v_dual_add_f32 v39, v13, v31
	v_fmamk_f32 v44, v34, 0xbf3f9e67, v72
	v_fma_f32 v63, 0x3f62ad3f, v39, -v85
	s_delay_alu instid0(VALU_DEP_2) | instskip(SKIP_2) | instid1(VALU_DEP_4)
	v_add_f32_e32 v6, v44, v6
	v_fma_f32 v44, 0x3df6dbef, v35, -v92
	v_fma_f32 v66, 0x3f116cb1, v39, -v102
	v_add_f32_e32 v7, v63, v7
	s_delay_alu instid0(VALU_DEP_3) | instskip(SKIP_1) | instid1(VALU_DEP_2)
	v_dual_add_f32 v55, v44, v55 :: v_dual_fmamk_f32 v44, v37, 0xbeb58ec6, v67
	v_fmamk_f32 v43, v34, 0x3df6dbef, v87
	v_dual_add_f32 v79, v66, v55 :: v_dual_add_f32 v4, v44, v4
	s_delay_alu instid0(VALU_DEP_2) | instskip(SKIP_1) | instid1(VALU_DEP_1)
	v_dual_mul_f32 v45, 0xbf7e222b, v97 :: v_dual_add_f32 v54, v43, v54
	v_dual_fmamk_f32 v43, v37, 0xbf788fa5, v62 :: v_dual_add_f32 v44, v19, v25
	v_dual_fmamk_f32 v57, v37, 0x3df6dbef, v45 :: v_dual_add_f32 v2, v43, v2
	v_mul_f32_e32 v51, 0xbf7e222b, v103
	v_fma_f32 v43, 0xbf788fa5, v39, -v64
	s_delay_alu instid0(VALU_DEP_3)
	v_add_f32_e32 v0, v57, v0
	v_fma_f32 v57, 0xbeb58ec6, v39, -v80
	v_fma_f32 v88, 0xbf788fa5, v44, -v110
	;; [unrolled: 1-line block ×3, first 2 shown]
	v_add_f32_e32 v3, v43, v3
	v_add_f32_e32 v43, v18, v24
	;; [unrolled: 1-line block ×3, first 2 shown]
	v_mul_f32_e32 v57, 0xbf6f5d39, v105
	v_add_f32_e32 v1, v59, v1
	v_fmamk_f32 v59, v37, 0x3f62ad3f, v82
	v_fmamk_f32 v55, v43, 0x3f62ad3f, v78
	;; [unrolled: 1-line block ×3, first 2 shown]
	v_dual_fmamk_f32 v70, v43, 0xbeb58ec6, v57 :: v_dual_add_f32 v95, v88, v79
	s_delay_alu instid0(VALU_DEP_4) | instskip(NEXT) | instid1(VALU_DEP_4)
	v_add_f32_e32 v6, v59, v6
	v_add_f32_e32 v4, v55, v4
	s_delay_alu instid0(VALU_DEP_3)
	v_dual_add_f32 v63, v63, v54 :: v_dual_add_f32 v0, v70, v0
	v_mul_f32_e32 v91, 0x3eedf032, v111
	v_fmamk_f32 v70, v43, 0x3df6dbef, v94
	v_mul_f32_e32 v73, 0x3f29c268, v105
	v_add_f32_e32 v55, v17, v27
	v_fmamk_f32 v83, v43, 0xbf788fa5, v108
	v_fma_f32 v66, 0x3f62ad3f, v44, -v91
	v_add_f32_e32 v6, v70, v6
	v_fmamk_f32 v54, v43, 0xbf3f9e67, v73
	v_fma_f32 v70, 0x3df6dbef, v44, -v96
	v_mul_f32_e32 v88, 0x3f7e222b, v109
	v_add_f32_e32 v5, v66, v5
	s_delay_alu instid0(VALU_DEP_4) | instskip(SKIP_2) | instid1(VALU_DEP_3)
	v_dual_mul_f32 v59, 0xbf6f5d39, v111 :: v_dual_add_f32 v2, v54, v2
	v_fma_f32 v54, 0xbf3f9e67, v44, -v77
	v_dual_mul_f32 v66, 0xbf29c268, v109 :: v_dual_add_f32 v7, v70, v7
	v_fma_f32 v71, 0xbeb58ec6, v44, -v59
	v_fma_f32 v99, 0x3f116cb1, v55, -v100
	s_delay_alu instid0(VALU_DEP_4) | instskip(SKIP_1) | instid1(VALU_DEP_4)
	v_dual_add_f32 v3, v54, v3 :: v_dual_add_f32 v54, v16, v26
	v_mul_f32_e32 v114, 0x3eedf032, v109
	v_add_f32_e32 v1, v71, v1
	v_fma_f32 v101, 0x3f62ad3f, v55, -v115
	v_add_f32_e32 v83, v83, v63
	v_fmamk_f32 v63, v54, 0x3df6dbef, v88
	v_mul_f32_e32 v71, 0xbf29c268, v117
	v_mul_f32_e32 v104, 0x3e750f2a, v109
	v_add_f32_e32 v5, v99, v5
	v_add_f32_e32 v173, v101, v95
	v_mul_f32_e32 v95, 0x3eedf032, v116
	v_dual_fmamk_f32 v99, v54, 0x3f62ad3f, v114 :: v_dual_add_f32 v2, v63, v2
	v_fma_f32 v70, 0xbf3f9e67, v55, -v71
	v_mul_f32_e32 v101, 0xbf29c268, v116
	s_delay_alu instid0(VALU_DEP_3) | instskip(SKIP_1) | instid1(VALU_DEP_4)
	v_add_f32_e32 v137, v99, v83
	v_fmamk_f32 v63, v54, 0xbf788fa5, v104
	v_add_f32_e32 v1, v70, v1
	v_mul_f32_e32 v83, 0xbe750f2a, v120
	s_delay_alu instid0(VALU_DEP_3) | instskip(SKIP_3) | instid1(VALU_DEP_3)
	v_dual_mul_f32 v99, 0x3eedf032, v120 :: v_dual_add_f32 v6, v63, v6
	v_fmamk_f32 v79, v54, 0x3f116cb1, v90
	v_fmamk_f32 v89, v54, 0xbf3f9e67, v66
	v_add_f32_e32 v63, v22, v20
	v_add_f32_e32 v4, v79, v4
	s_delay_alu instid0(VALU_DEP_3) | instskip(NEXT) | instid1(VALU_DEP_3)
	v_add_f32_e32 v0, v89, v0
	v_fmamk_f32 v112, v63, 0x3f62ad3f, v95
	v_mul_f32_e32 v89, 0x3f7e222b, v117
	v_mul_f32_e32 v79, 0xbe750f2a, v116
	v_fmamk_f32 v118, v63, 0xbf3f9e67, v101
	s_delay_alu instid0(VALU_DEP_4) | instskip(NEXT) | instid1(VALU_DEP_4)
	v_add_f32_e32 v2, v112, v2
	v_fma_f32 v70, 0x3df6dbef, v55, -v89
	s_delay_alu instid0(VALU_DEP_4) | instskip(NEXT) | instid1(VALU_DEP_2)
	v_fmamk_f32 v107, v63, 0xbf788fa5, v79
	v_dual_mul_f32 v112, 0x3f52af12, v116 :: v_dual_add_f32 v3, v70, v3
	v_fma_f32 v70, 0xbf788fa5, v55, -v106
	s_delay_alu instid0(VALU_DEP_3) | instskip(SKIP_1) | instid1(VALU_DEP_3)
	v_add_f32_e32 v167, v107, v0
	v_mul_f32_e32 v107, 0xbf29c268, v120
	v_dual_add_f32 v7, v70, v7 :: v_dual_add_f32 v70, v23, v21
	s_delay_alu instid0(VALU_DEP_1) | instskip(SKIP_1) | instid1(VALU_DEP_4)
	v_fma_f32 v0, 0xbf788fa5, v70, -v83
	v_fma_f32 v113, 0x3f62ad3f, v70, -v99
	;; [unrolled: 1-line block ×3, first 2 shown]
	s_delay_alu instid0(VALU_DEP_2) | instskip(SKIP_1) | instid1(VALU_DEP_3)
	v_dual_add_f32 v168, v0, v1 :: v_dual_add_f32 v3, v113, v3
	v_add_f32_e32 v0, v118, v4
	v_dual_mul_f32 v118, 0xbf6f5d39, v116 :: v_dual_add_f32 v1, v119, v5
	v_mul_f32_e32 v113, 0x3f52af12, v120
	v_mul_f32_e32 v119, 0xbf6f5d39, v120
	v_mul_lo_u16 v4, v172, 13
	v_fmamk_f32 v5, v63, 0x3f116cb1, v112
	v_fmamk_f32 v177, v63, 0xbeb58ec6, v118
	v_fma_f32 v176, 0x3f116cb1, v70, -v113
	v_fma_f32 v182, 0xbeb58ec6, v70, -v119
	s_delay_alu instid0(VALU_DEP_4) | instskip(NEXT) | instid1(VALU_DEP_3)
	v_dual_add_f32 v6, v5, v6 :: v_dual_and_b32 v183, 0xffff, v4
	v_dual_add_f32 v4, v177, v137 :: v_dual_add_f32 v7, v176, v7
	s_delay_alu instid0(VALU_DEP_3) | instskip(NEXT) | instid1(VALU_DEP_3)
	v_add_f32_e32 v5, v182, v173
	v_lshlrev_b32_e32 v177, 3, v183
	v_mul_u32_u24_e32 v173, 13, v68
	ds_store_2addr_b64 v177, v[46:47], v[121:122] offset1:1
	ds_store_2addr_b64 v177, v[125:126], v[129:130] offset0:2 offset1:3
	ds_store_2addr_b64 v177, v[133:134], v[169:170] offset0:4 offset1:5
	;; [unrolled: 1-line block ×5, first 2 shown]
	ds_store_b64 v177, v[123:124] offset:96
	s_and_saveexec_b32 s2, vcc_lo
	s_cbranch_execz .LBB0_7
; %bb.6:
	v_dual_mul_f32 v93, 0x3eedf032, v93 :: v_dual_mul_f32 v86, 0x3eedf032, v86
	v_dual_mul_f32 v46, 0xbf3f9e67, v32 :: v_dual_mul_f32 v47, 0xbf3f9e67, v33
	v_mul_f32_e32 v215, 0xbe750f2a, v74
	s_delay_alu instid0(VALU_DEP_3)
	v_fmamk_f32 v209, v35, 0x3f62ad3f, v93
	v_mul_f32_e32 v84, 0xbe750f2a, v84
	v_mul_f32_e32 v204, 0xbf788fa5, v63
	v_sub_f32_e32 v46, v46, v75
	v_fma_f32 v216, 0xbf788fa5, v32, -v215
	v_mul_f32_e32 v103, 0xbf29c268, v103
	v_fmamk_f32 v205, v33, 0xbf788fa5, v84
	v_dual_mul_f32 v190, 0x3df6dbef, v43 :: v_dual_mul_f32 v137, 0x3df6dbef, v34
	v_dual_mul_f32 v170, 0x3df6dbef, v37 :: v_dual_mul_f32 v169, 0x3df6dbef, v35
	s_delay_alu instid0(VALU_DEP_3) | instskip(SKIP_1) | instid1(VALU_DEP_3)
	v_dual_mul_f32 v196, 0x3df6dbef, v54 :: v_dual_add_f32 v205, v205, v9
	v_dual_mul_f32 v111, 0x3f52af12, v111 :: v_dual_add_f32 v216, v216, v8
	v_add_f32_e32 v92, v92, v169
	v_dual_mul_f32 v182, 0x3f116cb1, v37 :: v_dual_mul_f32 v183, 0x3f116cb1, v39
	s_delay_alu instid0(VALU_DEP_4) | instskip(SKIP_4) | instid1(VALU_DEP_4)
	v_add_f32_e32 v205, v209, v205
	v_fmamk_f32 v209, v39, 0xbf3f9e67, v103
	v_mul_f32_e32 v197, 0x3df6dbef, v55
	v_dual_mul_f32 v202, 0x3f62ad3f, v54 :: v_dual_mul_f32 v203, 0x3f62ad3f, v55
	v_dual_mul_f32 v117, 0xbf6f5d39, v117 :: v_dual_add_f32 v46, v46, v8
	v_dual_add_f32 v74, v209, v205 :: v_dual_fmamk_f32 v205, v44, 0x3f116cb1, v111
	v_sub_f32_e32 v87, v137, v87
	v_mul_f32_e32 v105, 0x3f52af12, v105
	v_dual_mul_f32 v206, 0xbf788fa5, v70 :: v_dual_add_f32 v47, v81, v47
	s_delay_alu instid0(VALU_DEP_4)
	v_dual_add_f32 v74, v205, v74 :: v_dual_fmamk_f32 v205, v55, 0xbeb58ec6, v117
	v_mul_f32_e32 v120, 0x3f7e222b, v120
	v_fma_f32 v217, 0x3f62ad3f, v34, -v86
	v_add_f32_e32 v46, v87, v46
	v_fma_f32 v75, 0x3f116cb1, v43, -v105
	v_mul_f32_e32 v97, 0xbf29c268, v97
	v_dual_mul_f32 v135, 0xbf3f9e67, v34 :: v_dual_mul_f32 v136, 0xbf3f9e67, v35
	v_add_f32_e32 v74, v205, v74
	v_add_f32_e32 v205, v217, v216
	s_delay_alu instid0(VALU_DEP_4) | instskip(SKIP_4) | instid1(VALU_DEP_3)
	v_fma_f32 v216, 0xbf3f9e67, v37, -v97
	v_add_f32_e32 v217, v47, v9
	v_fmamk_f32 v81, v70, 0x3df6dbef, v120
	v_dual_sub_f32 v87, v182, v98 :: v_dual_add_f32 v76, v76, v136
	v_dual_mul_f32 v192, 0xbf788fa5, v43 :: v_dual_mul_f32 v193, 0xbf788fa5, v44
	v_dual_add_f32 v47, v81, v74 :: v_dual_mul_f32 v98, 0x3f7e222b, v116
	s_delay_alu instid0(VALU_DEP_3)
	v_dual_add_f32 v81, v92, v217 :: v_dual_add_f32 v46, v87, v46
	v_add_f32_e32 v92, v102, v183
	v_mul_f32_e32 v102, 0xbf6f5d39, v109
	v_dual_add_f32 v74, v216, v205 :: v_dual_mul_f32 v125, 0x3df6dbef, v32
	v_mul_f32_e32 v126, 0x3df6dbef, v33
	v_dual_mul_f32 v127, 0xbeb58ec6, v32 :: v_dual_mul_f32 v128, 0xbeb58ec6, v33
	s_delay_alu instid0(VALU_DEP_3)
	v_dual_add_f32 v74, v75, v74 :: v_dual_add_f32 v75, v92, v81
	v_sub_f32_e32 v72, v135, v72
	v_fma_f32 v92, 0xbeb58ec6, v54, -v102
	v_sub_f32_e32 v87, v192, v108
	v_dual_mul_f32 v133, 0xbf788fa5, v34 :: v_dual_mul_f32 v134, 0xbf788fa5, v35
	v_dual_mul_f32 v174, 0x3df6dbef, v39 :: v_dual_mul_f32 v191, 0x3df6dbef, v44
	s_delay_alu instid0(VALU_DEP_4) | instskip(SKIP_4) | instid1(VALU_DEP_3)
	v_add_f32_e32 v74, v92, v74
	v_fma_f32 v92, 0x3df6dbef, v63, -v98
	v_add_f32_e32 v81, v110, v193
	v_add_f32_e32 v87, v87, v46
	v_dual_add_f32 v65, v65, v128 :: v_dual_add_f32 v56, v56, v126
	v_dual_add_f32 v46, v92, v74 :: v_dual_add_f32 v75, v81, v75
	v_dual_mul_f32 v123, 0x3f116cb1, v32 :: v_dual_mul_f32 v124, 0x3f116cb1, v33
	v_dual_mul_f32 v178, 0xbeb58ec6, v37 :: v_dual_mul_f32 v179, 0xbeb58ec6, v39
	;; [unrolled: 1-line block ×4, first 2 shown]
	v_add_f32_e32 v65, v65, v9
	v_dual_add_f32 v56, v56, v9 :: v_dual_add_f32 v69, v69, v134
	v_dual_add_f32 v50, v50, v124 :: v_dual_add_f32 v81, v115, v203
	v_dual_sub_f32 v61, v127, v61 :: v_dual_mul_f32 v188, 0x3f62ad3f, v43
	v_mul_f32_e32 v189, 0x3f62ad3f, v44
	s_delay_alu instid0(VALU_DEP_4)
	v_dual_add_f32 v56, v69, v56 :: v_dual_add_f32 v69, v80, v179
	v_add_f32_e32 v65, v76, v65
	v_add_f32_e32 v76, v85, v181
	v_dual_mul_f32 v200, 0xbf788fa5, v54 :: v_dual_mul_f32 v201, 0xbf788fa5, v55
	v_dual_mul_f32 v214, 0xbeb58ec6, v63 :: v_dual_mul_f32 v209, 0xbeb58ec6, v70
	v_add_f32_e32 v61, v61, v8
	s_delay_alu instid0(VALU_DEP_4)
	v_dual_add_f32 v56, v69, v56 :: v_dual_add_f32 v65, v76, v65
	v_sub_f32_e32 v52, v125, v52
	v_add_f32_e32 v76, v96, v191
	v_dual_mul_f32 v198, 0x3f116cb1, v54 :: v_dual_mul_f32 v199, 0x3f116cb1, v55
	v_dual_add_f32 v75, v81, v75 :: v_dual_sub_f32 v108, v202, v114
	v_add_f32_e32 v81, v119, v209
	s_delay_alu instid0(VALU_DEP_4)
	v_dual_add_f32 v65, v76, v65 :: v_dual_sub_f32 v60, v133, v60
	v_add_f32_e32 v76, v106, v201
	v_dual_add_f32 v69, v91, v189 :: v_dual_add_f32 v52, v52, v8
	v_add_f32_e32 v61, v72, v61
	v_sub_f32_e32 v72, v180, v82
	v_dual_mul_f32 v131, 0xbeb58ec6, v34 :: v_dual_mul_f32 v132, 0xbeb58ec6, v35
	v_add_f32_e32 v74, v108, v87
	v_add_f32_e32 v75, v81, v75
	v_dual_add_f32 v56, v69, v56 :: v_dual_add_f32 v69, v100, v199
	v_add_f32_e32 v50, v50, v9
	v_dual_add_f32 v61, v72, v61 :: v_dual_sub_f32 v72, v190, v94
	v_dual_mul_f32 v175, 0xbf788fa5, v37 :: v_dual_mul_f32 v176, 0xbf788fa5, v39
	s_delay_alu instid0(VALU_DEP_4) | instskip(NEXT) | instid1(VALU_DEP_3)
	v_dual_sub_f32 v81, v214, v118 :: v_dual_add_f32 v56, v69, v56
	v_dual_add_f32 v61, v72, v61 :: v_dual_add_f32 v58, v58, v132
	v_dual_sub_f32 v72, v200, v104 :: v_dual_sub_f32 v41, v123, v41
	v_add_f32_e32 v52, v60, v52
	v_dual_mul_f32 v186, 0xbf3f9e67, v43 :: v_dual_mul_f32 v187, 0xbf3f9e67, v44
	v_dual_add_f32 v65, v76, v65 :: v_dual_sub_f32 v60, v178, v67
	v_add_f32_e32 v76, v113, v213
	v_dual_add_f32 v61, v72, v61 :: v_dual_add_f32 v50, v58, v50
	v_dual_add_f32 v58, v64, v176 :: v_dual_sub_f32 v53, v131, v53
	v_add_f32_e32 v41, v41, v8
	v_dual_mul_f32 v121, 0x3f62ad3f, v32 :: v_dual_mul_f32 v122, 0x3f62ad3f, v33
	v_dual_add_f32 v74, v81, v74 :: v_dual_add_f32 v81, v76, v65
	s_delay_alu instid0(VALU_DEP_4)
	v_add_f32_e32 v50, v58, v50
	v_add_f32_e32 v52, v60, v52
	v_dual_sub_f32 v60, v188, v78 :: v_dual_add_f32 v41, v53, v41
	v_dual_add_f32 v58, v77, v187 :: v_dual_sub_f32 v53, v175, v62
	v_dual_mul_f32 v129, 0x3f116cb1, v34 :: v_dual_mul_f32 v130, 0x3f116cb1, v35
	v_dual_mul_f32 v210, 0xbf3f9e67, v63 :: v_dual_mul_f32 v211, 0xbf3f9e67, v70
	v_sub_f32_e32 v72, v212, v112
	s_delay_alu instid0(VALU_DEP_4)
	v_dual_add_f32 v52, v60, v52 :: v_dual_add_f32 v41, v53, v41
	v_sub_f32_e32 v53, v186, v73
	v_sub_f32_e32 v60, v198, v90
	v_dual_sub_f32 v62, v196, v88 :: v_dual_add_f32 v11, v11, v9
	v_sub_f32_e32 v36, v121, v36
	v_dual_add_f32 v80, v72, v61 :: v_dual_add_f32 v61, v107, v211
	v_dual_add_f32 v50, v58, v50 :: v_dual_add_f32 v41, v53, v41
	v_add_f32_e32 v52, v60, v52
	v_dual_sub_f32 v60, v210, v101 :: v_dual_add_f32 v11, v29, v11
	v_add_f32_e32 v36, v36, v8
	v_sub_f32_e32 v40, v129, v40
	v_dual_add_f32 v58, v89, v197 :: v_dual_mul_f32 v207, 0x3f62ad3f, v63
	v_dual_mul_f32 v208, 0x3f62ad3f, v70 :: v_dual_add_f32 v53, v61, v56
	s_delay_alu instid0(VALU_DEP_2) | instskip(SKIP_2) | instid1(VALU_DEP_4)
	v_dual_add_f32 v29, v40, v36 :: v_dual_add_f32 v50, v58, v50
	v_add_f32_e32 v11, v31, v11
	v_dual_mul_f32 v184, 0xbeb58ec6, v43 :: v_dual_mul_f32 v185, 0xbeb58ec6, v44
	v_dual_add_f32 v58, v99, v208 :: v_dual_add_f32 v41, v62, v41
	s_delay_alu instid0(VALU_DEP_3) | instskip(SKIP_4) | instid1(VALU_DEP_4)
	v_dual_add_f32 v52, v60, v52 :: v_dual_add_f32 v11, v25, v11
	v_add_f32_e32 v10, v10, v8
	v_dual_sub_f32 v36, v170, v45 :: v_dual_fmac_f32 v105, 0x3f116cb1, v43
	v_add_f32_e32 v56, v38, v122
	v_dual_add_f32 v38, v58, v50 :: v_dual_sub_f32 v31, v184, v57
	v_add_f32_e32 v10, v28, v10
	v_add_f32_e32 v28, v59, v185
	v_dual_add_f32 v42, v42, v130 :: v_dual_add_f32 v29, v36, v29
	v_dual_add_f32 v50, v56, v9 :: v_dual_add_f32 v11, v27, v11
	v_fmac_f32_e32 v215, 0xbf788fa5, v32
	v_dual_mul_f32 v194, 0xbf3f9e67, v54 :: v_dual_mul_f32 v195, 0xbf3f9e67, v55
	s_delay_alu instid0(VALU_DEP_3)
	v_dual_add_f32 v42, v42, v50 :: v_dual_add_f32 v21, v21, v11
	v_add_f32_e32 v50, v51, v174
	v_fmac_f32_e32 v86, 0x3f62ad3f, v34
	v_fmac_f32_e32 v97, 0xbf3f9e67, v37
	v_add_f32_e32 v29, v31, v29
	v_add_f32_e32 v21, v23, v21
	v_fma_f32 v23, 0xbf788fa5, v33, -v84
	v_add_f32_e32 v40, v50, v42
	v_fmac_f32_e32 v102, 0xbeb58ec6, v54
	v_add_f32_e32 v27, v83, v206
	v_add_f32_e32 v17, v17, v21
	v_dual_add_f32 v9, v23, v9 :: v_dual_add_f32 v10, v30, v10
	v_fma_f32 v21, 0x3f62ad3f, v35, -v93
	s_delay_alu instid0(VALU_DEP_3) | instskip(SKIP_1) | instid1(VALU_DEP_3)
	v_dual_fmac_f32 v98, 0x3df6dbef, v63 :: v_dual_add_f32 v17, v19, v17
	v_fma_f32 v19, 0xbf3f9e67, v39, -v103
	v_dual_add_f32 v10, v24, v10 :: v_dual_add_f32 v9, v21, v9
	s_delay_alu instid0(VALU_DEP_3) | instskip(SKIP_1) | instid1(VALU_DEP_3)
	v_dual_sub_f32 v24, v194, v66 :: v_dual_add_f32 v13, v13, v17
	v_fma_f32 v17, 0x3f116cb1, v44, -v111
	v_dual_add_f32 v10, v26, v10 :: v_dual_add_f32 v9, v19, v9
	s_delay_alu instid0(VALU_DEP_3) | instskip(NEXT) | instid1(VALU_DEP_2)
	v_dual_sub_f32 v26, v204, v79 :: v_dual_add_f32 v13, v15, v13
	v_dual_add_f32 v20, v20, v10 :: v_dual_add_f32 v15, v17, v9
	s_delay_alu instid0(VALU_DEP_1) | instskip(NEXT) | instid1(VALU_DEP_1)
	v_dual_add_f32 v9, v49, v13 :: v_dual_add_f32 v20, v22, v20
	v_add_f32_e32 v16, v16, v20
	s_delay_alu instid0(VALU_DEP_1) | instskip(NEXT) | instid1(VALU_DEP_1)
	v_add_f32_e32 v16, v18, v16
	v_add_f32_e32 v12, v12, v16
	v_fma_f32 v16, 0xbeb58ec6, v55, -v117
	s_delay_alu instid0(VALU_DEP_1) | instskip(SKIP_3) | instid1(VALU_DEP_3)
	v_dual_add_f32 v12, v14, v12 :: v_dual_add_f32 v13, v16, v15
	v_fma_f32 v14, 0x3df6dbef, v70, -v120
	v_add_f32_e32 v8, v215, v8
	v_dual_add_f32 v25, v28, v40 :: v_dual_add_f32 v28, v71, v195
	v_dual_sub_f32 v56, v207, v95 :: v_dual_add_f32 v13, v14, v13
	s_delay_alu instid0(VALU_DEP_3) | instskip(SKIP_1) | instid1(VALU_DEP_4)
	v_add_f32_e32 v8, v86, v8
	v_lshlrev_b32_e32 v16, 3, v173
	v_add_f32_e32 v25, v28, v25
	s_delay_alu instid0(VALU_DEP_3) | instskip(NEXT) | instid1(VALU_DEP_1)
	v_dual_add_f32 v37, v56, v41 :: v_dual_add_f32 v8, v97, v8
	v_dual_add_f32 v11, v27, v25 :: v_dual_add_f32 v8, v105, v8
	s_delay_alu instid0(VALU_DEP_1) | instskip(NEXT) | instid1(VALU_DEP_1)
	v_dual_add_f32 v24, v24, v29 :: v_dual_add_f32 v15, v102, v8
	v_add_f32_e32 v10, v26, v24
	v_add_f32_e32 v8, v48, v12
	s_delay_alu instid0(VALU_DEP_3)
	v_add_f32_e32 v12, v98, v15
	ds_store_2addr_b64 v16, v[8:9], v[10:11] offset1:1
	ds_store_2addr_b64 v16, v[37:38], v[52:53] offset0:2 offset1:3
	ds_store_2addr_b64 v16, v[80:81], v[74:75] offset0:4 offset1:5
	ds_store_2addr_b64 v16, v[46:47], v[12:13] offset0:6 offset1:7
	ds_store_2addr_b64 v16, v[4:5], v[6:7] offset0:8 offset1:9
	ds_store_2addr_b64 v16, v[0:1], v[2:3] offset0:10 offset1:11
	ds_store_b64 v16, v[167:168] offset:96
.LBB0_7:
	s_wait_alu 0xfffe
	s_or_b32 exec_lo, exec_lo, s2
	v_and_b32_e32 v8, 0xff, v172
	global_wb scope:SCOPE_SE
	s_wait_dscnt 0x0
	s_barrier_signal -1
	s_barrier_wait -1
	global_inv scope:SCOPE_SE
	v_mul_lo_u16 v8, 0x4f, v8
	v_add_co_u32 v69, null, 0xb6, v172
	v_mad_co_u64_u32 v[92:93], null, v172, 48, s[0:1]
	s_delay_alu instid0(VALU_DEP_3) | instskip(NEXT) | instid1(VALU_DEP_1)
	v_lshrrev_b16 v48, 10, v8
	v_mul_lo_u16 v9, v48, 13
	s_delay_alu instid0(VALU_DEP_1) | instskip(NEXT) | instid1(VALU_DEP_1)
	v_sub_nc_u16 v9, v172, v9
	v_and_b32_e32 v49, 0xff, v9
	s_delay_alu instid0(VALU_DEP_1) | instskip(NEXT) | instid1(VALU_DEP_1)
	v_mul_u32_u24_e32 v9, 6, v49
	v_lshlrev_b32_e32 v9, 3, v9
	s_clause 0x1
	global_load_b128 v[32:35], v9, s[0:1]
	global_load_b128 v[24:27], v9, s[0:1] offset:16
	v_and_b32_e32 v8, 0xff, v68
	v_and_b32_e32 v52, 0xffff, v69
	v_add_nc_u32_e32 v117, 0x400, v171
	v_add_nc_u32_e32 v109, 0x1000, v171
	s_delay_alu instid0(VALU_DEP_4) | instskip(NEXT) | instid1(VALU_DEP_1)
	v_mul_lo_u16 v8, 0x4f, v8
	v_lshrrev_b16 v51, 10, v8
	s_delay_alu instid0(VALU_DEP_1) | instskip(NEXT) | instid1(VALU_DEP_1)
	v_mul_lo_u16 v8, v51, 13
	v_sub_nc_u16 v8, v68, v8
	s_delay_alu instid0(VALU_DEP_1) | instskip(NEXT) | instid1(VALU_DEP_1)
	v_and_b32_e32 v50, 0xff, v8
	v_mul_u32_u24_e32 v8, 6, v50
	s_delay_alu instid0(VALU_DEP_1)
	v_lshlrev_b32_e32 v8, 3, v8
	s_clause 0x1
	global_load_b128 v[40:43], v9, s[0:1] offset:32
	global_load_b128 v[36:39], v8, s[0:1]
	v_mul_u32_u24_e32 v9, 0x4ec5, v52
	s_clause 0x1
	global_load_b128 v[28:31], v8, s[0:1] offset:16
	global_load_b128 v[20:23], v8, s[0:1] offset:32
	v_mul_u32_u24_e32 v52, 0x6817, v52
	v_add_nc_u32_e32 v114, 0x1400, v171
	v_lshrrev_b32_e32 v82, 18, v9
	v_add_nc_u32_e32 v116, 0x2000, v171
	v_add_nc_u32_e32 v115, 0x3000, v171
	v_lshrrev_b32_e32 v84, 16, v52
	v_and_b32_e32 v51, 0xffff, v51
	v_mul_lo_u16 v8, v82, 13
	s_delay_alu instid0(VALU_DEP_3) | instskip(NEXT) | instid1(VALU_DEP_3)
	v_sub_nc_u16 v78, v69, v84
	v_mul_u32_u24_e32 v51, 0x5b, v51
	s_delay_alu instid0(VALU_DEP_3) | instskip(NEXT) | instid1(VALU_DEP_3)
	v_sub_nc_u16 v83, v69, v8
	v_lshrrev_b16 v85, 1, v78
	s_delay_alu instid0(VALU_DEP_2) | instskip(SKIP_1) | instid1(VALU_DEP_3)
	v_mul_lo_u16 v8, v83, 6
	v_mad_u16 v86, 0x5b, v82, v83
	v_add_nc_u16 v87, v85, v84
	s_delay_alu instid0(VALU_DEP_3) | instskip(NEXT) | instid1(VALU_DEP_2)
	v_and_b32_e32 v8, 0xffff, v8
	v_lshrrev_b16 v95, 6, v87
	s_delay_alu instid0(VALU_DEP_2)
	v_lshlrev_b32_e32 v8, 3, v8
	s_clause 0x2
	global_load_b128 v[16:19], v8, s[0:1]
	global_load_b128 v[12:15], v8, s[0:1] offset:16
	global_load_b128 v[8:11], v8, s[0:1] offset:32
	ds_load_2addr_b64 v[44:47], v171 offset1:91
	ds_load_b64 v[90:91], v171 offset:14560
	ds_load_2addr_b64 v[52:55], v117 offset0:54 offset1:145
	ds_load_2addr_b64 v[56:59], v109 offset0:34 offset1:125
	v_add_nc_u32_e32 v108, 0x2400, v171
	ds_load_2addr_b64 v[60:63], v114 offset0:88 offset1:179
	ds_load_2addr_b64 v[64:67], v116 offset0:68 offset1:159
	;; [unrolled: 1-line block ×4, first 2 shown]
	v_and_b32_e32 v94, 0xffff, v86
	v_and_b32_e32 v48, 0xffff, v48
	s_wait_loadcnt_dscnt 0x702
	v_mul_f32_e32 v98, v64, v27
	v_dual_mul_f32 v96, v62, v25 :: v_dual_mul_f32 v97, v65, v27
	s_delay_alu instid0(VALU_DEP_2) | instskip(SKIP_1) | instid1(VALU_DEP_2)
	v_fmac_f32_e32 v98, v65, v26
	s_wait_loadcnt_dscnt 0x601
	v_dual_fmac_f32 v96, v63, v24 :: v_dual_mul_f32 v99, v73, v41
	s_wait_loadcnt 0x5
	v_mul_f32_e32 v105, v59, v39
	v_mul_u32_u24_e32 v48, 0x5b, v48
	s_wait_loadcnt 0x4
	v_dual_mul_f32 v111, v67, v31 :: v_dual_lshlrev_b32 v174, 3, v94
	s_wait_loadcnt_dscnt 0x300
	v_mul_f32_e32 v121, v77, v23
	v_mul_lo_u16 v94, 0x5b, v95
	v_mul_f32_e32 v95, v63, v25
	v_add_lshl_u32 v175, v51, v50, 3
	v_mul_f32_e32 v51, v56, v35
	v_add_nc_u32_e32 v118, 0x800, v171
	v_mul_f32_e32 v50, v57, v35
	v_add_lshl_u32 v176, v48, v49, 3
	s_delay_alu instid0(VALU_DEP_4)
	v_dual_mul_f32 v48, v55, v33 :: v_dual_fmac_f32 v51, v57, v34
	ds_load_2addr_b64 v[78:81], v118 offset0:108 offset1:199
	v_add_nc_u32_e32 v119, 0x1800, v171
	v_add_nc_u32_e32 v130, 0x2c00, v171
	v_mul_f32_e32 v112, v66, v31
	v_fma_f32 v50, v56, v34, -v50
	v_fma_f32 v56, v72, v40, -v99
	v_mul_f32_e32 v100, v72, v41
	s_delay_alu instid0(VALU_DEP_4)
	v_dual_mul_f32 v49, v54, v33 :: v_dual_fmac_f32 v112, v67, v30
	v_mul_f32_e32 v101, v75, v43
	v_fma_f32 v48, v54, v32, -v48
	v_fma_f32 v54, v62, v24, -v95
	v_fmac_f32_e32 v100, v73, v40
	v_fma_f32 v65, v76, v22, -v121
	v_fmac_f32_e32 v49, v55, v32
	v_fma_f32 v63, v66, v30, -v111
	v_fma_f32 v55, v64, v26, -v97
	;; [unrolled: 1-line block ×3, first 2 shown]
	s_wait_dscnt 0x0
	v_mul_f32_e32 v104, v78, v37
	ds_load_2addr_b64 v[82:85], v119 offset0:142 offset1:233
	s_wait_loadcnt 0x2
	v_mul_f32_e32 v67, v80, v17
	ds_load_2addr_b64 v[86:89], v130 offset0:48 offset1:139
	v_dual_mul_f32 v102, v74, v43 :: v_dual_mul_f32 v103, v79, v37
	v_dual_mul_f32 v106, v58, v39 :: v_dual_fmac_f32 v67, v81, v16
	v_fma_f32 v58, v58, v38, -v105
	s_delay_alu instid0(VALU_DEP_3) | instskip(NEXT) | instid1(VALU_DEP_4)
	v_fmac_f32_e32 v102, v75, v42
	v_fma_f32 v62, v78, v36, -v103
	global_wb scope:SCOPE_SE
	s_wait_loadcnt_dscnt 0x0
	s_barrier_signal -1
	s_barrier_wait -1
	global_inv scope:SCOPE_SE
	v_mul_f32_e32 v73, v60, v19
	s_delay_alu instid0(VALU_DEP_1)
	v_dual_mul_f32 v122, v76, v23 :: v_dual_fmac_f32 v73, v61, v18
	v_mul_f32_e32 v107, v83, v29
	v_mul_f32_e32 v110, v82, v29
	;; [unrolled: 1-line block ×4, first 2 shown]
	v_dual_mul_f32 v113, v87, v21 :: v_dual_fmac_f32 v122, v77, v22
	s_delay_alu instid0(VALU_DEP_4) | instskip(SKIP_1) | instid1(VALU_DEP_4)
	v_dual_fmac_f32 v110, v83, v28 :: v_dual_mul_f32 v77, v70, v15
	v_dual_mul_f32 v83, v90, v11 :: v_dual_mul_f32 v66, v81, v17
	v_fmac_f32_e32 v75, v85, v12
	v_dual_fmac_f32 v104, v79, v36 :: v_dual_mul_f32 v79, v88, v9
	v_fmac_f32_e32 v106, v59, v38
	v_fma_f32 v59, v82, v28, -v107
	v_mul_f32_e32 v78, v89, v9
	v_dual_add_f32 v81, v62, v65 :: v_dual_mul_f32 v76, v71, v15
	v_fma_f32 v64, v86, v20, -v113
	v_fmac_f32_e32 v77, v71, v14
	v_dual_fmac_f32 v79, v89, v8 :: v_dual_add_f32 v86, v59, v63
	s_delay_alu instid0(VALU_DEP_4)
	v_fma_f32 v70, v70, v14, -v76
	v_add_f32_e32 v76, v49, v102
	v_dual_sub_f32 v49, v49, v102 :: v_dual_sub_f32 v62, v62, v65
	v_sub_f32_e32 v59, v63, v59
	v_fma_f32 v71, v88, v8, -v78
	v_add_f32_e32 v78, v51, v100
	v_sub_f32_e32 v51, v51, v100
	v_dual_fmac_f32 v120, v87, v20 :: v_dual_sub_f32 v65, v104, v122
	v_mul_f32_e32 v74, v85, v13
	v_dual_mul_f32 v72, v61, v19 :: v_dual_fmac_f32 v83, v91, v10
	s_delay_alu instid0(VALU_DEP_3) | instskip(SKIP_1) | instid1(VALU_DEP_4)
	v_add_f32_e32 v85, v106, v120
	v_fma_f32 v66, v80, v16, -v66
	v_fma_f32 v61, v84, v12, -v74
	v_add_f32_e32 v84, v58, v64
	v_sub_f32_e32 v58, v58, v64
	v_add_f32_e32 v74, v48, v57
	v_dual_sub_f32 v48, v48, v57 :: v_dual_add_f32 v57, v50, v56
	v_dual_mul_f32 v82, v91, v11 :: v_dual_sub_f32 v63, v112, v110
	v_sub_f32_e32 v50, v50, v56
	v_dual_add_f32 v56, v54, v55 :: v_dual_add_f32 v103, v59, v58
	v_dual_sub_f32 v54, v55, v54 :: v_dual_add_f32 v99, v84, v81
	v_sub_f32_e32 v55, v98, v96
	v_fma_f32 v60, v60, v18, -v72
	v_fma_f32 v72, v90, v10, -v82
	v_dual_add_f32 v87, v110, v112 :: v_dual_add_f32 v80, v96, v98
	s_delay_alu instid0(VALU_DEP_4)
	v_add_f32_e32 v96, v55, v51
	v_sub_f32_e32 v98, v55, v51
	v_sub_f32_e32 v55, v49, v55
	;; [unrolled: 1-line block ×5, first 2 shown]
	v_add_f32_e32 v82, v104, v122
	v_dual_sub_f32 v64, v106, v120 :: v_dual_sub_f32 v105, v59, v58
	v_add_f32_e32 v95, v54, v50
	v_dual_add_f32 v89, v78, v76 :: v_dual_add_f32 v88, v57, v74
	v_add_f32_e32 v107, v66, v72
	v_dual_sub_f32 v59, v62, v59 :: v_dual_add_f32 v100, v85, v82
	v_dual_sub_f32 v90, v57, v74 :: v_dual_sub_f32 v51, v51, v49
	v_dual_sub_f32 v74, v74, v56 :: v_dual_sub_f32 v57, v56, v57
	;; [unrolled: 1-line block ×4, first 2 shown]
	v_sub_f32_e32 v76, v76, v80
	v_sub_f32_e32 v78, v80, v78
	;; [unrolled: 1-line block ×3, first 2 shown]
	v_dual_add_f32 v104, v63, v64 :: v_dual_mul_f32 v81, 0x3f4a47b2, v81
	v_sub_f32_e32 v106, v63, v64
	v_add_f32_e32 v110, v67, v83
	v_dual_sub_f32 v66, v66, v72 :: v_dual_sub_f32 v67, v67, v83
	v_add_f32_e32 v72, v60, v71
	v_add_f32_e32 v83, v73, v79
	v_sub_f32_e32 v60, v60, v71
	v_sub_f32_e32 v71, v73, v79
	v_add_f32_e32 v73, v61, v70
	v_add_f32_e32 v79, v75, v77
	v_sub_f32_e32 v61, v70, v61
	v_sub_f32_e32 v82, v82, v87
	;; [unrolled: 1-line block ×3, first 2 shown]
	v_add_f32_e32 v56, v56, v88
	v_dual_add_f32 v75, v80, v89 :: v_dual_sub_f32 v84, v86, v84
	v_dual_add_f32 v49, v96, v49 :: v_dual_sub_f32 v58, v58, v62
	v_add_f32_e32 v87, v87, v100
	v_dual_sub_f32 v63, v65, v63 :: v_dual_add_f32 v48, v95, v48
	v_dual_mul_f32 v74, 0x3f4a47b2, v74 :: v_dual_sub_f32 v111, v72, v107
	v_mul_f32_e32 v76, 0x3f4a47b2, v76
	v_dual_mul_f32 v77, 0x3d64c772, v57 :: v_dual_mul_f32 v80, 0x3d64c772, v78
	v_dual_add_f32 v113, v61, v60 :: v_dual_mul_f32 v88, 0xbf08b237, v97
	v_sub_f32_e32 v121, v61, v60
	v_mul_f32_e32 v89, 0xbf08b237, v98
	v_dual_mul_f32 v95, 0x3f5ff5aa, v50 :: v_dual_sub_f32 v64, v64, v65
	v_dual_mul_f32 v97, 0x3d64c772, v84 :: v_dual_add_f32 v86, v86, v99
	v_dual_fmamk_f32 v57, v57, 0x3d64c772, v74 :: v_dual_add_f32 v62, v103, v62
	v_add_f32_e32 v45, v45, v75
	v_dual_add_f32 v65, v104, v65 :: v_dual_mul_f32 v82, 0x3f4a47b2, v82
	v_add_f32_e32 v47, v47, v87
	v_dual_mul_f32 v99, 0xbf08b237, v105 :: v_dual_mul_f32 v100, 0xbf08b237, v106
	v_mul_f32_e32 v103, 0x3f5ff5aa, v58
	v_dual_add_f32 v105, v72, v107 :: v_dual_sub_f32 v112, v83, v110
	v_dual_sub_f32 v107, v107, v73 :: v_dual_sub_f32 v72, v73, v72
	v_add_f32_e32 v106, v83, v110
	v_dual_sub_f32 v83, v79, v83 :: v_dual_add_f32 v44, v44, v56
	v_fmamk_f32 v87, v87, 0xbf955555, v47
	v_mul_f32_e32 v98, 0x3d64c772, v85
	v_dual_mul_f32 v104, 0x3f5ff5aa, v64 :: v_dual_sub_f32 v61, v66, v61
	v_fma_f32 v77, 0x3f3bfb3b, v90, -v77
	v_fma_f32 v80, 0x3f3bfb3b, v91, -v80
	;; [unrolled: 1-line block ×3, first 2 shown]
	v_fmamk_f32 v90, v54, 0x3eae86e6, v88
	v_fma_f32 v88, 0x3f5ff5aa, v50, -v88
	v_fma_f32 v95, 0xbeae86e6, v54, -v95
	v_fmamk_f32 v50, v84, 0x3d64c772, v81
	v_fma_f32 v54, 0x3f3bfb3b, v101, -v97
	v_fma_f32 v97, 0x3f5ff5aa, v58, -v99
	v_dual_add_f32 v58, v73, v105 :: v_dual_mul_f32 v73, 0x3d64c772, v72
	v_mul_f32_e32 v96, 0x3f5ff5aa, v51
	v_fmamk_f32 v56, v56, 0xbf955555, v44
	v_fmamk_f32 v84, v59, 0x3eae86e6, v99
	v_fma_f32 v99, 0xbeae86e6, v59, -v103
	v_dual_add_f32 v59, v79, v106 :: v_dual_fmamk_f32 v78, v78, 0x3d64c772, v76
	v_fma_f32 v76, 0xbf3bfb3b, v91, -v76
	v_fmamk_f32 v91, v55, 0x3eae86e6, v89
	v_fma_f32 v89, 0x3f5ff5aa, v51, -v89
	v_sub_f32_e32 v60, v60, v66
	v_dual_sub_f32 v122, v70, v71 :: v_dual_fmamk_f32 v75, v75, 0xbf955555, v45
	v_fma_f32 v96, 0xbeae86e6, v55, -v96
	v_dual_add_f32 v46, v46, v86 :: v_dual_fmac_f32 v95, 0x3ee1c552, v48
	v_fmamk_f32 v51, v85, 0x3d64c772, v82
	v_fma_f32 v55, 0x3f3bfb3b, v102, -v98
	v_fma_f32 v81, 0xbf3bfb3b, v101, -v81
	;; [unrolled: 1-line block ×3, first 2 shown]
	v_dual_mul_f32 v101, 0xbf08b237, v121 :: v_dual_sub_f32 v110, v110, v79
	v_fmamk_f32 v85, v63, 0x3eae86e6, v100
	v_fma_f32 v98, 0x3f5ff5aa, v64, -v100
	v_fma_f32 v100, 0xbeae86e6, v63, -v104
	v_dual_add_f32 v63, v113, v66 :: v_dual_mul_f32 v66, 0x3f4a47b2, v107
	v_dual_fmac_f32 v89, 0x3ee1c552, v49 :: v_dual_add_f32 v120, v70, v71
	v_mul_f32_e32 v103, 0x3f5ff5aa, v60
	v_sub_f32_e32 v71, v71, v67
	v_dual_sub_f32 v70, v67, v70 :: v_dual_fmac_f32 v91, 0x3ee1c552, v49
	s_delay_alu instid0(VALU_DEP_4)
	v_dual_add_f32 v64, v120, v67 :: v_dual_fmac_f32 v85, 0x3ee1c552, v65
	v_mul_f32_e32 v67, 0x3f4a47b2, v110
	v_mul_f32_e32 v79, 0x3d64c772, v83
	;; [unrolled: 1-line block ×3, first 2 shown]
	v_dual_fmac_f32 v88, 0x3ee1c552, v48 :: v_dual_fmac_f32 v97, 0x3ee1c552, v62
	v_dual_fmac_f32 v99, 0x3ee1c552, v62 :: v_dual_fmac_f32 v100, 0x3ee1c552, v65
	v_fma_f32 v106, 0x3f3bfb3b, v111, -v73
	v_fma_f32 v103, 0xbeae86e6, v61, -v103
	v_dual_fmac_f32 v98, 0x3ee1c552, v65 :: v_dual_add_f32 v65, v74, v56
	v_fmamk_f32 v105, v72, 0x3d64c772, v66
	v_fma_f32 v107, 0xbf3bfb3b, v111, -v66
	v_fmamk_f32 v111, v61, 0x3eae86e6, v101
	v_fmac_f32_e32 v90, 0x3ee1c552, v48
	v_fmac_f32_e32 v96, 0x3ee1c552, v49
	v_dual_add_f32 v48, v52, v58 :: v_dual_fmamk_f32 v83, v83, 0x3d64c772, v67
	v_dual_add_f32 v49, v53, v59 :: v_dual_fmamk_f32 v86, v86, 0xbf955555, v46
	v_add_f32_e32 v61, v78, v75
	v_mul_f32_e32 v104, 0x3f5ff5aa, v71
	v_add_f32_e32 v73, v82, v87
	v_add_f32_e32 v66, v76, v75
	v_fma_f32 v79, 0x3f3bfb3b, v112, -v79
	v_fma_f32 v110, 0xbf3bfb3b, v112, -v67
	v_fma_f32 v101, 0x3f5ff5aa, v60, -v101
	v_add_f32_e32 v60, v57, v56
	v_dual_add_f32 v57, v77, v56 :: v_dual_fmac_f32 v84, 0x3ee1c552, v62
	v_add_f32_e32 v62, v80, v75
	v_add_f32_e32 v75, v51, v87
	v_fmamk_f32 v77, v59, 0xbf955555, v49
	v_dual_add_f32 v59, v95, v66 :: v_dual_fmamk_f32 v112, v70, 0x3eae86e6, v102
	v_fma_f32 v102, 0x3f5ff5aa, v71, -v102
	v_dual_add_f32 v74, v50, v86 :: v_dual_add_f32 v71, v55, v87
	v_dual_fmamk_f32 v76, v58, 0xbf955555, v48 :: v_dual_sub_f32 v51, v61, v90
	v_fma_f32 v104, 0xbeae86e6, v70, -v104
	v_add_f32_e32 v70, v54, v86
	v_dual_add_f32 v72, v81, v86 :: v_dual_add_f32 v61, v90, v61
	v_fmac_f32_e32 v111, 0x3ee1c552, v63
	v_dual_fmac_f32 v101, 0x3ee1c552, v63 :: v_dual_fmac_f32 v102, 0x3ee1c552, v64
	v_dual_fmac_f32 v103, 0x3ee1c552, v63 :: v_dual_fmac_f32 v104, 0x3ee1c552, v64
	v_dual_add_f32 v50, v91, v60 :: v_dual_add_f32 v55, v88, v62
	v_fmac_f32_e32 v112, 0x3ee1c552, v64
	v_add_f32_e32 v56, v89, v57
	v_dual_sub_f32 v58, v65, v96 :: v_dual_add_f32 v87, v83, v77
	v_dual_sub_f32 v54, v57, v89 :: v_dual_sub_f32 v57, v62, v88
	v_dual_sub_f32 v60, v60, v91 :: v_dual_add_f32 v83, v79, v77
	v_dual_sub_f32 v63, v75, v84 :: v_dual_add_f32 v62, v85, v74
	v_dual_add_f32 v67, v97, v71 :: v_dual_sub_f32 v74, v74, v85
	v_dual_add_f32 v75, v84, v75 :: v_dual_add_f32 v86, v105, v76
	v_add_f32_e32 v82, v106, v76
	v_dual_add_f32 v84, v107, v76 :: v_dual_add_f32 v85, v110, v77
	v_dual_add_f32 v52, v96, v65 :: v_dual_sub_f32 v77, v87, v111
	v_sub_f32_e32 v53, v66, v95
	v_dual_sub_f32 v65, v73, v99 :: v_dual_sub_f32 v66, v70, v98
	v_dual_add_f32 v81, v101, v83 :: v_dual_add_f32 v70, v98, v70
	v_dual_add_f32 v64, v100, v72 :: v_dual_sub_f32 v79, v85, v103
	v_dual_sub_f32 v71, v71, v97 :: v_dual_sub_f32 v72, v72, v100
	v_dual_add_f32 v73, v99, v73 :: v_dual_add_f32 v76, v112, v86
	v_add_f32_e32 v78, v104, v84
	v_sub_f32_e32 v80, v82, v102
	v_dual_add_f32 v82, v102, v82 :: v_dual_sub_f32 v83, v83, v101
	v_dual_sub_f32 v84, v84, v104 :: v_dual_add_f32 v85, v103, v85
	v_dual_sub_f32 v86, v86, v112 :: v_dual_add_f32 v87, v111, v87
	ds_store_2addr_b64 v176, v[44:45], v[50:51] offset1:13
	ds_store_2addr_b64 v176, v[52:53], v[54:55] offset0:26 offset1:39
	ds_store_2addr_b64 v176, v[56:57], v[58:59] offset0:52 offset1:65
	ds_store_b64 v176, v[60:61] offset:624
	ds_store_2addr_b64 v175, v[46:47], v[62:63] offset1:13
	ds_store_2addr_b64 v175, v[64:65], v[66:67] offset0:26 offset1:39
	ds_store_2addr_b64 v175, v[70:71], v[72:73] offset0:52 offset1:65
	ds_store_b64 v175, v[74:75] offset:624
	;; [unrolled: 4-line block ×3, first 2 shown]
	v_sub_nc_u16 v70, v69, v94
	global_wb scope:SCOPE_SE
	s_wait_dscnt 0x0
	s_barrier_signal -1
	s_barrier_wait -1
	global_inv scope:SCOPE_SE
	v_mul_lo_u16 v44, v70, 48
	s_clause 0x2
	global_load_b128 v[64:67], v[92:93], off offset:624
	global_load_b128 v[60:63], v[92:93], off offset:640
	global_load_b128 v[56:59], v[92:93], off offset:656
	v_and_b32_e32 v70, 0xffff, v70
	v_and_b32_e32 v44, 0xffff, v44
	v_lshlrev_b32_e32 v69, 4, v69
	s_delay_alu instid0(VALU_DEP_3) | instskip(NEXT) | instid1(VALU_DEP_3)
	v_lshlrev_b32_e32 v178, 3, v70
	v_add_co_u32 v44, s2, s0, v44
	s_wait_alu 0xf1ff
	v_add_co_ci_u32_e64 v45, null, s1, 0, s2
	s_clause 0x2
	global_load_b128 v[52:55], v[44:45], off offset:624
	global_load_b128 v[48:51], v[44:45], off offset:640
	;; [unrolled: 1-line block ×3, first 2 shown]
	ds_load_2addr_b64 v[70:73], v117 offset0:54 offset1:145
	ds_load_2addr_b64 v[74:77], v109 offset0:34 offset1:125
	;; [unrolled: 1-line block ×6, first 2 shown]
	ds_load_2addr_b64 v[94:97], v171 offset1:91
	ds_load_2addr_b64 v[98:101], v118 offset0:108 offset1:199
	ds_load_2addr_b64 v[102:105], v119 offset0:142 offset1:233
	;; [unrolled: 1-line block ×3, first 2 shown]
	ds_load_b64 v[106:107], v171 offset:14560
	v_lshlrev_b32_e32 v120, 4, v172
	v_lshlrev_b32_e32 v68, 4, v68
	global_wb scope:SCOPE_SE
	s_wait_loadcnt_dscnt 0x0
	s_barrier_signal -1
	s_barrier_wait -1
	global_inv scope:SCOPE_SE
	v_mul_f32_e32 v124, v73, v65
	v_dual_mul_f32 v125, v72, v65 :: v_dual_mul_f32 v126, v75, v67
	v_dual_mul_f32 v127, v74, v67 :: v_dual_mul_f32 v128, v81, v61
	v_mul_f32_e32 v129, v80, v61
	v_mul_f32_e32 v131, v83, v63
	s_delay_alu instid0(VALU_DEP_4)
	v_dual_mul_f32 v132, v82, v63 :: v_dual_fmac_f32 v125, v73, v64
	v_mul_f32_e32 v133, v89, v57
	v_dual_mul_f32 v134, v88, v57 :: v_dual_fmac_f32 v127, v75, v66
	v_mul_f32_e32 v135, v91, v59
	;; [unrolled: 2-line block ×3, first 2 shown]
	v_mul_f32_e32 v197, v112, v45
	v_dual_mul_f32 v169, v98, v65 :: v_dual_mul_f32 v170, v77, v67
	v_mul_f32_e32 v179, v76, v67
	v_dual_mul_f32 v181, v102, v61 :: v_dual_mul_f32 v182, v85, v63
	v_dual_mul_f32 v183, v84, v63 :: v_dual_mul_f32 v184, v111, v57
	;; [unrolled: 1-line block ×3, first 2 shown]
	v_dual_mul_f32 v187, v92, v59 :: v_dual_add_nc_u32 v122, 0x2c00, v178
	v_mul_f32_e32 v193, v104, v49
	v_dual_mul_f32 v180, v103, v61 :: v_dual_fmac_f32 v179, v77, v66
	v_dual_mul_f32 v189, v100, v53 :: v_dual_mul_f32 v190, v79, v55
	s_delay_alu instid0(VALU_DEP_4) | instskip(SKIP_1) | instid1(VALU_DEP_3)
	v_fmac_f32_e32 v187, v93, v58
	v_dual_mul_f32 v191, v78, v55 :: v_dual_mul_f32 v188, v101, v53
	v_dual_mul_f32 v194, v87, v51 :: v_dual_fmac_f32 v189, v101, v52
	v_dual_mul_f32 v195, v86, v51 :: v_dual_mul_f32 v192, v105, v49
	v_dual_mul_f32 v198, v107, v47 :: v_dual_fmac_f32 v193, v105, v48
	v_dual_mul_f32 v199, v106, v47 :: v_dual_mul_f32 v196, v113, v45
	v_fma_f32 v72, v72, v64, -v124
	v_fma_f32 v73, v74, v66, -v126
	;; [unrolled: 1-line block ×3, first 2 shown]
	s_delay_alu instid0(VALU_DEP_4)
	v_fmac_f32_e32 v199, v107, v46
	v_fma_f32 v75, v82, v62, -v131
	v_dual_fmac_f32 v132, v83, v62 :: v_dual_fmac_f32 v197, v113, v44
	v_fma_f32 v80, v88, v56, -v133
	v_fmac_f32_e32 v134, v89, v56
	v_fma_f32 v81, v90, v58, -v135
	v_fmac_f32_e32 v136, v91, v58
	;; [unrolled: 2-line block ×6, first 2 shown]
	v_fma_f32 v85, v92, v58, -v186
	v_fma_f32 v77, v102, v60, -v180
	;; [unrolled: 1-line block ×3, first 2 shown]
	v_fmac_f32_e32 v191, v79, v54
	v_fma_f32 v88, v100, v52, -v188
	v_fma_f32 v86, v86, v50, -v194
	v_fmac_f32_e32 v195, v87, v50
	v_fma_f32 v79, v104, v48, -v192
	v_fma_f32 v87, v112, v44, -v196
	;; [unrolled: 1-line block ×3, first 2 shown]
	v_dual_add_f32 v98, v74, v75 :: v_dual_add_f32 v103, v179, v185
	v_dual_sub_f32 v74, v75, v74 :: v_dual_add_f32 v101, v169, v187
	v_dual_sub_f32 v75, v132, v129 :: v_dual_add_f32 v92, v73, v80
	v_add_f32_e32 v93, v127, v134
	v_dual_sub_f32 v73, v73, v80 :: v_dual_add_f32 v90, v72, v81
	v_dual_add_f32 v91, v125, v136 :: v_dual_sub_f32 v72, v72, v81
	v_dual_sub_f32 v81, v125, v136 :: v_dual_sub_f32 v80, v127, v134
	v_dual_add_f32 v99, v129, v132 :: v_dual_add_f32 v100, v82, v85
	v_add_f32_e32 v102, v76, v84
	v_dual_sub_f32 v82, v82, v85 :: v_dual_add_f32 v105, v181, v183
	v_dual_sub_f32 v85, v169, v187 :: v_dual_sub_f32 v76, v76, v84
	v_dual_sub_f32 v84, v179, v185 :: v_dual_add_f32 v107, v189, v199
	v_dual_add_f32 v104, v77, v83 :: v_dual_add_f32 v111, v191, v197
	v_sub_f32_e32 v77, v83, v77
	v_sub_f32_e32 v83, v183, v181
	v_add_f32_e32 v106, v88, v89
	v_dual_sub_f32 v88, v88, v89 :: v_dual_add_f32 v113, v193, v195
	v_add_f32_e32 v110, v78, v87
	v_sub_f32_e32 v78, v78, v87
	v_dual_add_f32 v112, v79, v86 :: v_dual_sub_f32 v79, v86, v79
	v_dual_sub_f32 v86, v195, v193 :: v_dual_add_f32 v125, v93, v91
	v_dual_add_f32 v124, v92, v90 :: v_dual_sub_f32 v127, v93, v91
	v_sub_f32_e32 v89, v189, v199
	v_dual_sub_f32 v87, v191, v197 :: v_dual_sub_f32 v126, v92, v90
	v_dual_sub_f32 v91, v91, v99 :: v_dual_sub_f32 v90, v90, v98
	v_add_f32_e32 v129, v75, v80
	v_dual_sub_f32 v92, v98, v92 :: v_dual_sub_f32 v93, v99, v93
	v_dual_add_f32 v128, v74, v73 :: v_dual_sub_f32 v133, v73, v72
	v_dual_sub_f32 v131, v74, v73 :: v_dual_sub_f32 v132, v75, v80
	v_dual_sub_f32 v74, v72, v74 :: v_dual_add_f32 v73, v102, v100
	v_dual_sub_f32 v80, v80, v81 :: v_dual_sub_f32 v135, v102, v100
	v_add_f32_e32 v134, v103, v101
	v_dual_sub_f32 v136, v103, v101 :: v_dual_add_f32 v137, v77, v76
	v_dual_sub_f32 v100, v100, v104 :: v_dual_sub_f32 v101, v101, v105
	v_dual_sub_f32 v102, v104, v102 :: v_dual_add_f32 v169, v83, v84
	v_sub_f32_e32 v103, v105, v103
	v_dual_sub_f32 v170, v77, v76 :: v_dual_sub_f32 v77, v82, v77
	v_dual_sub_f32 v179, v83, v84 :: v_dual_sub_f32 v76, v76, v82
	;; [unrolled: 1-line block ×3, first 2 shown]
	v_dual_add_f32 v180, v110, v106 :: v_dual_add_f32 v181, v111, v107
	v_dual_sub_f32 v182, v110, v106 :: v_dual_sub_f32 v183, v111, v107
	v_dual_sub_f32 v106, v106, v112 :: v_dual_sub_f32 v107, v107, v113
	v_dual_add_f32 v184, v79, v78 :: v_dual_add_f32 v185, v86, v87
	v_dual_sub_f32 v186, v79, v78 :: v_dual_sub_f32 v187, v86, v87
	v_dual_sub_f32 v78, v78, v88 :: v_dual_sub_f32 v87, v87, v89
	v_dual_add_f32 v98, v98, v124 :: v_dual_add_f32 v99, v99, v125
	v_dual_sub_f32 v75, v81, v75 :: v_dual_add_f32 v124, v128, v72
	v_dual_add_f32 v81, v129, v81 :: v_dual_mul_f32 v90, 0x3f4a47b2, v90
	v_mul_f32_e32 v91, 0x3f4a47b2, v91
	v_dual_mul_f32 v125, 0x3d64c772, v92 :: v_dual_mul_f32 v128, 0x3d64c772, v93
	v_dual_mul_f32 v129, 0xbf08b237, v131 :: v_dual_add_f32 v104, v104, v73
	v_dual_mul_f32 v131, 0xbf08b237, v132 :: v_dual_add_f32 v82, v137, v82
	;; [unrolled: 1-line block ×4, first 2 shown]
	v_dual_sub_f32 v110, v112, v110 :: v_dual_sub_f32 v111, v113, v111
	v_dual_sub_f32 v79, v88, v79 :: v_dual_sub_f32 v86, v89, v86
	v_dual_mul_f32 v100, 0x3f4a47b2, v100 :: v_dual_mul_f32 v101, 0x3f4a47b2, v101
	v_dual_mul_f32 v134, 0x3d64c772, v102 :: v_dual_mul_f32 v137, 0x3d64c772, v103
	;; [unrolled: 1-line block ×3, first 2 shown]
	v_mul_f32_e32 v179, 0x3f5ff5aa, v76
	v_dual_mul_f32 v189, 0x3f5ff5aa, v84 :: v_dual_add_f32 v72, v94, v98
	v_dual_add_f32 v112, v112, v180 :: v_dual_add_f32 v113, v113, v181
	v_dual_add_f32 v88, v184, v88 :: v_dual_add_f32 v89, v185, v89
	v_dual_mul_f32 v106, 0x3f4a47b2, v106 :: v_dual_mul_f32 v107, 0x3f4a47b2, v107
	v_dual_mul_f32 v184, 0xbf08b237, v186 :: v_dual_mul_f32 v185, 0xbf08b237, v187
	v_dual_mul_f32 v186, 0x3f5ff5aa, v78 :: v_dual_add_f32 v73, v95, v99
	v_fmamk_f32 v92, v92, 0x3d64c772, v90
	v_mul_f32_e32 v187, 0x3f5ff5aa, v87
	v_fmamk_f32 v93, v93, 0x3d64c772, v91
	v_fma_f32 v94, 0x3f3bfb3b, v126, -v125
	v_fma_f32 v95, 0x3f3bfb3b, v127, -v128
	;; [unrolled: 1-line block ×4, first 2 shown]
	v_fmamk_f32 v125, v74, 0x3eae86e6, v129
	v_fmamk_f32 v126, v75, 0x3eae86e6, v131
	v_fma_f32 v127, 0x3f5ff5aa, v133, -v129
	v_fma_f32 v128, 0x3f5ff5aa, v80, -v131
	;; [unrolled: 1-line block ×4, first 2 shown]
	v_dual_add_f32 v75, v97, v105 :: v_dual_add_f32 v74, v96, v104
	v_dual_mul_f32 v180, 0x3d64c772, v110 :: v_dual_mul_f32 v181, 0x3d64c772, v111
	v_fmamk_f32 v80, v102, 0x3d64c772, v100
	v_fma_f32 v97, 0x3f3bfb3b, v135, -v134
	v_fma_f32 v102, 0x3f3bfb3b, v136, -v137
	;; [unrolled: 1-line block ×3, first 2 shown]
	v_fmamk_f32 v132, v83, 0x3eae86e6, v170
	v_fma_f32 v133, 0x3f5ff5aa, v76, -v169
	v_fma_f32 v134, 0x3f5ff5aa, v84, -v170
	;; [unrolled: 1-line block ×3, first 2 shown]
	v_dual_add_f32 v70, v70, v112 :: v_dual_add_f32 v71, v71, v113
	v_fmamk_f32 v76, v110, 0x3d64c772, v106
	v_fma_f32 v110, 0x3f5ff5aa, v78, -v184
	v_fma_f32 v170, 0xbeae86e6, v79, -v186
	v_fmamk_f32 v78, v98, 0xbf955555, v72
	v_fmamk_f32 v137, v79, 0x3eae86e6, v184
	;; [unrolled: 1-line block ×4, first 2 shown]
	v_fma_f32 v101, 0xbf3bfb3b, v136, -v101
	v_fmamk_f32 v103, v77, 0x3eae86e6, v169
	v_fma_f32 v136, 0xbeae86e6, v83, -v189
	v_fmamk_f32 v77, v111, 0x3d64c772, v107
	v_fmamk_f32 v169, v86, 0x3eae86e6, v185
	v_fma_f32 v111, 0x3f5ff5aa, v87, -v185
	v_fma_f32 v179, 0xbeae86e6, v86, -v187
	v_dual_fmac_f32 v125, 0x3ee1c552, v124 :: v_dual_fmac_f32 v126, 0x3ee1c552, v81
	v_dual_fmac_f32 v127, 0x3ee1c552, v124 :: v_dual_fmac_f32 v128, 0x3ee1c552, v81
	;; [unrolled: 1-line block ×3, first 2 shown]
	v_dual_fmamk_f32 v81, v104, 0xbf955555, v74 :: v_dual_fmamk_f32 v86, v105, 0xbf955555, v75
	v_fma_f32 v83, 0x3f3bfb3b, v182, -v180
	v_fma_f32 v84, 0x3f3bfb3b, v183, -v181
	;; [unrolled: 1-line block ×4, first 2 shown]
	v_dual_fmac_f32 v129, 0x3ee1c552, v124 :: v_dual_fmac_f32 v132, 0x3ee1c552, v85
	v_dual_fmac_f32 v103, 0x3ee1c552, v82 :: v_dual_fmac_f32 v134, 0x3ee1c552, v85
	;; [unrolled: 1-line block ×4, first 2 shown]
	v_dual_fmamk_f32 v82, v112, 0xbf955555, v70 :: v_dual_fmamk_f32 v85, v113, 0xbf955555, v71
	v_add_f32_e32 v87, v92, v78
	v_dual_add_f32 v90, v90, v78 :: v_dual_fmac_f32 v137, 0x3ee1c552, v88
	v_add_f32_e32 v98, v80, v81
	v_dual_add_f32 v88, v93, v79 :: v_dual_fmac_f32 v111, 0x3ee1c552, v89
	v_dual_add_f32 v124, v83, v82 :: v_dual_fmac_f32 v179, 0x3ee1c552, v89
	;; [unrolled: 1-line block ×3, first 2 shown]
	v_add_f32_e32 v112, v76, v82
	v_dual_add_f32 v89, v94, v78 :: v_dual_add_f32 v94, v97, v81
	v_add_f32_e32 v91, v91, v79
	v_dual_add_f32 v99, v96, v86 :: v_dual_add_f32 v182, v107, v85
	v_dual_add_f32 v95, v102, v86 :: v_dual_add_f32 v180, v84, v85
	v_dual_add_f32 v96, v100, v81 :: v_dual_add_f32 v97, v101, v86
	v_dual_add_f32 v113, v77, v85 :: v_dual_add_f32 v78, v131, v90
	v_dual_add_f32 v181, v106, v82 :: v_dual_sub_f32 v80, v89, v128
	v_dual_add_f32 v76, v126, v87 :: v_dual_sub_f32 v77, v88, v125
	v_dual_sub_f32 v84, v90, v131 :: v_dual_sub_f32 v79, v91, v129
	v_dual_add_f32 v81, v127, v92 :: v_dual_add_f32 v82, v128, v89
	v_dual_sub_f32 v83, v92, v127 :: v_dual_sub_f32 v86, v87, v126
	v_dual_add_f32 v85, v129, v91 :: v_dual_add_f32 v90, v136, v96
	v_dual_add_f32 v87, v125, v88 :: v_dual_add_f32 v88, v132, v98
	v_dual_sub_f32 v89, v99, v103 :: v_dual_sub_f32 v96, v96, v136
	v_dual_sub_f32 v91, v97, v135 :: v_dual_sub_f32 v98, v98, v132
	v_dual_sub_f32 v92, v94, v134 :: v_dual_add_f32 v93, v133, v95
	v_add_f32_e32 v102, v179, v181
	v_dual_add_f32 v94, v134, v94 :: v_dual_sub_f32 v95, v95, v133
	v_dual_add_f32 v100, v169, v112 :: v_dual_add_nc_u32 v121, 0x2400, v178
	v_add_nc_u32_e32 v123, 0x3000, v178
	v_dual_add_f32 v97, v135, v97 :: v_dual_sub_f32 v104, v124, v111
	v_dual_add_f32 v99, v103, v99 :: v_dual_sub_f32 v112, v112, v169
	v_dual_sub_f32 v101, v113, v137 :: v_dual_add_f32 v106, v111, v124
	v_sub_f32_e32 v103, v182, v170
	v_add_f32_e32 v105, v110, v180
	v_dual_sub_f32 v107, v180, v110 :: v_dual_sub_f32 v110, v181, v179
	v_add_f32_e32 v111, v170, v182
	v_add_f32_e32 v113, v137, v113
	ds_store_2addr_b64 v171, v[72:73], v[76:77] offset1:91
	ds_store_2addr_b64 v117, v[78:79], v[80:81] offset0:54 offset1:145
	ds_store_2addr_b64 v118, v[82:83], v[84:85] offset0:108 offset1:199
	;; [unrolled: 1-line block ×9, first 2 shown]
	ds_store_b64 v178, v[112:113] offset:14560
	global_wb scope:SCOPE_SE
	s_wait_dscnt 0x0
	s_barrier_signal -1
	s_barrier_wait -1
	global_inv scope:SCOPE_SE
	s_clause 0x2
	global_load_b128 v[92:95], v120, s[0:1] offset:4992
	global_load_b128 v[88:91], v68, s[0:1] offset:4992
	;; [unrolled: 1-line block ×3, first 2 shown]
	v_add_nc_u32_e32 v68, 0x1110, v120
	v_add_nc_u32_e32 v69, 0x16c0, v120
	s_clause 0x1
	global_load_b128 v[80:83], v68, s[0:1] offset:4992
	global_load_b128 v[76:79], v69, s[0:1] offset:4992
	v_add_nc_u32_e32 v68, 0x1c70, v120
	v_add_nc_u32_e32 v69, 0x2220, v120
	s_clause 0x1
	global_load_b128 v[72:75], v68, s[0:1] offset:4992
	global_load_b128 v[68:71], v69, s[0:1] offset:4992
	ds_load_2addr_b64 v[96:99], v109 offset0:34 offset1:125
	ds_load_2addr_b64 v[104:107], v108 offset0:122 offset1:213
	;; [unrolled: 1-line block ×5, first 2 shown]
	ds_load_2addr_b64 v[131:134], v171 offset1:91
	ds_load_2addr_b64 v[179:182], v117 offset0:54 offset1:145
	ds_load_2addr_b64 v[100:103], v118 offset0:108 offset1:199
	;; [unrolled: 1-line block ×4, first 2 shown]
	ds_load_b64 v[128:129], v171 offset:14560
	v_add_nc_u32_e32 v137, 0x2800, v171
	v_add_nc_u32_e32 v191, 0x3400, v171
	s_add_nc_u64 s[0:1], s[12:13], 0x3bb8
	s_wait_loadcnt_dscnt 0x60a
	v_mul_f32_e32 v135, v99, v93
	s_wait_dscnt 0x9
	v_dual_mul_f32 v136, v98, v93 :: v_dual_mul_f32 v169, v105, v95
	v_mul_f32_e32 v170, v104, v95
	s_wait_loadcnt_dscnt 0x508
	v_mul_f32_e32 v192, v111, v89
	v_dual_mul_f32 v194, v107, v91 :: v_dual_mul_f32 v193, v110, v89
	s_wait_loadcnt 0x4
	v_dual_mul_f32 v195, v106, v91 :: v_dual_mul_f32 v196, v113, v85
	s_wait_dscnt 0x7
	v_dual_mul_f32 v197, v112, v85 :: v_dual_mul_f32 v198, v121, v87
	s_wait_loadcnt 0x3
	v_mul_f32_e32 v202, v123, v83
	v_dual_mul_f32 v203, v122, v83 :: v_dual_fmac_f32 v136, v99, v92
	s_wait_loadcnt_dscnt 0x206
	v_mul_f32_e32 v204, v127, v77
	v_dual_mul_f32 v205, v126, v77 :: v_dual_fmac_f32 v170, v105, v94
	s_wait_dscnt 0x2
	v_mul_f32_e32 v206, v184, v79
	v_fma_f32 v98, v98, v92, -v135
	s_wait_loadcnt 0x1
	v_mul_f32_e32 v211, v185, v75
	v_fma_f32 v99, v104, v94, -v169
	v_fma_f32 v104, v110, v88, -v192
	;; [unrolled: 1-line block ×3, first 2 shown]
	s_wait_loadcnt_dscnt 0x1
	v_dual_mul_f32 v199, v120, v87 :: v_dual_mul_f32 v212, v190, v69
	v_mul_f32_e32 v200, v125, v81
	s_wait_dscnt 0x0
	v_dual_mul_f32 v201, v124, v81 :: v_dual_mul_f32 v214, v129, v71
	v_dual_mul_f32 v207, v183, v79 :: v_dual_mul_f32 v208, v188, v73
	v_dual_mul_f32 v210, v186, v75 :: v_dual_fmac_f32 v193, v111, v88
	v_fma_f32 v106, v112, v84, -v196
	v_fmac_f32_e32 v197, v113, v84
	v_fma_f32 v111, v122, v82, -v202
	v_fma_f32 v112, v126, v76, -v204
	v_add_f32_e32 v122, v131, v98
	v_dual_fmac_f32 v211, v186, v74 :: v_dual_sub_f32 v186, v104, v105
	v_fmac_f32_e32 v195, v107, v90
	v_fma_f32 v107, v120, v86, -v198
	v_mul_f32_e32 v209, v187, v73
	v_mul_f32_e32 v213, v189, v69
	v_dual_mul_f32 v215, v128, v71 :: v_dual_add_f32 v126, v133, v104
	v_fma_f32 v110, v124, v80, -v200
	v_fmac_f32_e32 v201, v125, v80
	v_fmac_f32_e32 v205, v127, v76
	v_fma_f32 v120, v187, v72, -v208
	v_add_f32_e32 v124, v132, v136
	v_add_f32_e32 v125, v136, v170
	v_dual_add_f32 v127, v104, v105 :: v_dual_add_f32 v104, v179, v106
	v_fmac_f32_e32 v199, v121, v86
	v_add_f32_e32 v135, v106, v107
	v_dual_sub_f32 v106, v106, v107 :: v_dual_fmac_f32 v207, v184, v78
	v_sub_f32_e32 v184, v136, v170
	v_dual_add_f32 v136, v180, v197 :: v_dual_fmac_f32 v203, v123, v82
	v_fma_f32 v113, v183, v78, -v206
	v_fmac_f32_e32 v209, v188, v72
	v_fma_f32 v169, v185, v74, -v210
	v_fma_f32 v121, v189, v68, -v212
	;; [unrolled: 1-line block ×3, first 2 shown]
	v_dual_fmac_f32 v215, v129, v70 :: v_dual_sub_f32 v196, v110, v111
	v_add_f32_e32 v123, v98, v99
	v_sub_f32_e32 v98, v98, v99
	v_add_f32_e32 v188, v197, v199
	v_dual_sub_f32 v192, v201, v203 :: v_dual_fmac_f32 v213, v190, v68
	v_dual_add_f32 v128, v134, v193 :: v_dual_add_f32 v129, v193, v195
	v_dual_add_f32 v204, v120, v169 :: v_dual_sub_f32 v185, v193, v195
	v_dual_sub_f32 v187, v197, v199 :: v_dual_add_f32 v210, v96, v121
	v_dual_add_f32 v189, v181, v110 :: v_dual_add_f32 v190, v110, v111
	v_dual_add_f32 v193, v182, v201 :: v_dual_add_f32 v212, v121, v183
	v_add_f32_e32 v194, v201, v203
	v_add_f32_e32 v110, v100, v112
	v_dual_sub_f32 v198, v205, v207 :: v_dual_add_f32 v197, v112, v113
	v_sub_f32_e32 v214, v213, v215
	v_add_f32_e32 v200, v101, v205
	v_dual_add_f32 v201, v205, v207 :: v_dual_add_f32 v202, v102, v120
	v_dual_sub_f32 v205, v209, v211 :: v_dual_fmac_f32 v134, -0.5, v129
	v_add_f32_e32 v206, v103, v209
	v_dual_add_f32 v208, v209, v211 :: v_dual_sub_f32 v209, v120, v169
	v_add_f32_e32 v216, v97, v213
	v_dual_add_f32 v213, v213, v215 :: v_dual_fmac_f32 v182, -0.5, v194
	v_add_f32_e32 v120, v122, v99
	v_fma_f32 v122, -0.5, v123, v131
	v_fma_f32 v123, -0.5, v125, v132
	;; [unrolled: 1-line block ×3, first 2 shown]
	v_add_f32_e32 v125, v128, v195
	v_fma_f32 v128, -0.5, v135, v179
	v_fma_f32 v129, -0.5, v188, v180
	v_dual_sub_f32 v112, v112, v113 :: v_dual_sub_f32 v217, v121, v183
	v_dual_add_f32 v121, v124, v170 :: v_dual_add_f32 v124, v126, v105
	v_dual_add_f32 v126, v104, v107 :: v_dual_add_f32 v135, v110, v113
	v_dual_add_f32 v127, v136, v199 :: v_dual_fmamk_f32 v170, v98, 0xbf5db3d7, v123
	v_fma_f32 v181, -0.5, v190, v181
	v_fma_f32 v100, -0.5, v197, v100
	v_dual_add_f32 v136, v200, v207 :: v_dual_fmac_f32 v103, -0.5, v208
	v_fma_f32 v101, -0.5, v201, v101
	v_add_f32_e32 v110, v202, v169
	v_fma_f32 v102, -0.5, v204, v102
	v_dual_add_f32 v104, v210, v183 :: v_dual_fmac_f32 v97, -0.5, v213
	v_fma_f32 v96, -0.5, v212, v96
	v_fmamk_f32 v169, v184, 0x3f5db3d7, v122
	v_fmac_f32_e32 v122, 0xbf5db3d7, v184
	v_fmac_f32_e32 v123, 0x3f5db3d7, v98
	v_dual_add_f32 v131, v189, v111 :: v_dual_fmamk_f32 v180, v186, 0xbf5db3d7, v134
	v_dual_add_f32 v105, v216, v215 :: v_dual_fmamk_f32 v184, v106, 0xbf5db3d7, v129
	v_dual_fmamk_f32 v179, v185, 0x3f5db3d7, v133 :: v_dual_fmamk_f32 v98, v198, 0x3f5db3d7, v100
	v_fmamk_f32 v183, v187, 0x3f5db3d7, v128
	v_dual_add_f32 v111, v206, v211 :: v_dual_fmac_f32 v134, 0x3f5db3d7, v186
	v_dual_fmac_f32 v133, 0xbf5db3d7, v185 :: v_dual_fmac_f32 v128, 0xbf5db3d7, v187
	v_dual_fmac_f32 v129, 0x3f5db3d7, v106 :: v_dual_add_f32 v132, v193, v203
	v_dual_fmamk_f32 v185, v192, 0x3f5db3d7, v181 :: v_dual_fmamk_f32 v106, v214, 0x3f5db3d7, v96
	v_dual_fmac_f32 v181, 0xbf5db3d7, v192 :: v_dual_fmamk_f32 v186, v196, 0xbf5db3d7, v182
	v_fmac_f32_e32 v182, 0x3f5db3d7, v196
	v_dual_fmac_f32 v100, 0xbf5db3d7, v198 :: v_dual_fmamk_f32 v99, v112, 0xbf5db3d7, v101
	v_dual_fmac_f32 v101, 0x3f5db3d7, v112 :: v_dual_fmamk_f32 v112, v205, 0x3f5db3d7, v102
	;; [unrolled: 1-line block ×3, first 2 shown]
	v_fmac_f32_e32 v103, 0x3f5db3d7, v209
	v_dual_fmac_f32 v96, 0xbf5db3d7, v214 :: v_dual_fmamk_f32 v107, v217, 0xbf5db3d7, v97
	v_fmac_f32_e32 v97, 0x3f5db3d7, v217
	ds_store_b64 v171, v[169:170] offset:5096
	ds_store_b64 v171, v[122:123] offset:10192
	ds_store_2addr_b64 v171, v[120:121], v[124:125] offset1:91
	ds_store_2addr_b64 v114, v[179:180], v[183:184] offset0:88 offset1:179
	ds_store_2addr_b64 v137, v[133:134], v[128:129] offset0:85 offset1:176
	;; [unrolled: 1-line block ×6, first 2 shown]
	ds_store_b64 v171, v[104:105] offset:4368
	ds_store_2addr_b64 v116, v[112:113], v[106:107] offset0:68 offset1:159
	ds_store_2addr_b64 v191, v[102:103], v[96:97] offset0:65 offset1:156
	global_wb scope:SCOPE_SE
	s_wait_dscnt 0x0
	s_barrier_signal -1
	s_barrier_wait -1
	global_inv scope:SCOPE_SE
	s_clause 0xc
	global_load_b64 v[116:117], v[138:139], off offset:15288
	global_load_b64 v[123:124], v171, s[0:1] offset:1176
	global_load_b64 v[127:128], v171, s[0:1] offset:2352
	;; [unrolled: 1-line block ×12, first 2 shown]
	ds_load_2addr_b64 v[119:122], v171 offset1:147
	s_wait_loadcnt_dscnt 0xc00
	v_mul_f32_e32 v126, v120, v117
	v_mul_f32_e32 v125, v119, v117
	s_wait_loadcnt 0xb
	v_mul_f32_e32 v129, v122, v124
	v_mul_f32_e32 v117, v121, v124
	v_fma_f32 v124, v119, v116, -v126
	v_fmac_f32_e32 v125, v120, v116
	s_delay_alu instid0(VALU_DEP_4) | instskip(NEXT) | instid1(VALU_DEP_4)
	v_fma_f32 v116, v121, v123, -v129
	v_fmac_f32_e32 v117, v122, v123
	ds_store_2addr_b64 v171, v[124:125], v[116:117] offset1:147
	v_add_nc_u32_e32 v116, 0x1a00, v171
	ds_load_2addr_b64 v[119:122], v118 offset0:38 offset1:185
	ds_load_2addr_b64 v[123:126], v109 offset0:76 offset1:223
	;; [unrolled: 1-line block ×5, first 2 shown]
	ds_load_b64 v[203:204], v171 offset:14112
	s_wait_loadcnt_dscnt 0x503
	v_dual_mul_f32 v207, v124, v170 :: v_dual_mul_f32 v210, v134, v192
	v_mul_f32_e32 v206, v123, v170
	v_mul_f32_e32 v129, v119, v128
	;; [unrolled: 1-line block ×5, first 2 shown]
	s_wait_loadcnt_dscnt 0x302
	v_dual_mul_f32 v209, v132, v190 :: v_dual_mul_f32 v212, v182, v196
	v_dual_mul_f32 v188, v131, v190 :: v_dual_mul_f32 v205, v122, v136
	v_mul_f32_e32 v190, v133, v192
	v_mul_f32_e32 v137, v121, v136
	;; [unrolled: 1-line block ×4, first 2 shown]
	s_wait_loadcnt_dscnt 0x201
	v_dual_mul_f32 v194, v181, v196 :: v_dual_mul_f32 v213, v184, v198
	s_wait_loadcnt 0x1
	v_mul_f32_e32 v214, v186, v200
	v_mul_f32_e32 v196, v183, v198
	s_wait_loadcnt_dscnt 0x0
	v_dual_mul_f32 v198, v185, v200 :: v_dual_mul_f32 v215, v204, v202
	v_mul_f32_e32 v200, v203, v202
	v_fmac_f32_e32 v206, v124, v169
	v_fmac_f32_e32 v129, v120, v127
	;; [unrolled: 1-line block ×3, first 2 shown]
	v_fma_f32 v128, v119, v127, -v117
	v_fmac_f32_e32 v188, v132, v189
	v_fma_f32 v136, v121, v135, -v205
	v_fmac_f32_e32 v190, v134, v191
	v_dual_fmac_f32 v137, v122, v135 :: v_dual_fmac_f32 v192, v180, v193
	v_fma_f32 v205, v123, v169, -v207
	v_fma_f32 v169, v125, v187, -v208
	v_fma_f32 v187, v131, v189, -v209
	v_fma_f32 v189, v133, v191, -v210
	v_fma_f32 v191, v179, v193, -v211
	v_fma_f32 v193, v181, v195, -v212
	v_fmac_f32_e32 v194, v182, v195
	v_fma_f32 v195, v183, v197, -v213
	v_fmac_f32_e32 v196, v184, v197
	v_fma_f32 v197, v185, v199, -v214
	;; [unrolled: 2-line block ×3, first 2 shown]
	v_fmac_f32_e32 v200, v204, v201
	ds_store_2addr_b64 v118, v[128:129], v[136:137] offset0:38 offset1:185
	ds_store_2addr_b64 v109, v[205:206], v[169:170] offset0:76 offset1:223
	;; [unrolled: 1-line block ×5, first 2 shown]
	ds_store_b64 v171, v[199:200] offset:14112
	s_and_saveexec_b32 s2, vcc_lo
	s_cbranch_execz .LBB0_9
; %bb.8:
	s_wait_alu 0xfffe
	v_add_co_u32 v119, s0, s0, v171
	s_wait_alu 0xf1ff
	v_add_co_ci_u32_e64 v120, null, s1, 0, s0
	s_clause 0xc
	global_load_b64 v[127:128], v[119:120], off offset:728
	global_load_b64 v[135:136], v[119:120], off offset:1904
	;; [unrolled: 1-line block ×13, first 2 shown]
	v_add_nc_u32_e32 v117, 0xc00, v171
	ds_load_2addr_b64 v[119:122], v171 offset0:91 offset1:238
	ds_load_2addr_b64 v[123:126], v117 offset0:1 offset1:148
	v_add_nc_u32_e32 v215, 0x1c00, v171
	ds_load_2addr_b64 v[131:134], v114 offset0:39 offset1:186
	s_wait_loadcnt_dscnt 0xc02
	v_dual_mul_f32 v213, v120, v128 :: v_dual_add_nc_u32 v216, 0x2600, v171
	v_mul_f32_e32 v129, v119, v128
	s_wait_loadcnt_dscnt 0xa01
	v_mul_f32_e32 v214, v123, v170
	ds_load_2addr_b64 v[179:182], v215 offset0:77 offset1:224
	ds_load_2addr_b64 v[183:186], v216 offset0:51 offset1:198
	;; [unrolled: 1-line block ×3, first 2 shown]
	ds_load_b64 v[211:212], v171 offset:14840
	s_wait_loadcnt_dscnt 0x804
	v_dual_mul_f32 v220, v132, v194 :: v_dual_mul_f32 v217, v122, v136
	v_dual_mul_f32 v137, v121, v136 :: v_dual_mul_f32 v218, v124, v170
	v_mul_f32_e32 v219, v126, v192
	v_dual_mul_f32 v170, v125, v192 :: v_dual_fmac_f32 v129, v120, v127
	s_wait_loadcnt 0x7
	v_dual_mul_f32 v192, v131, v194 :: v_dual_mul_f32 v221, v134, v196
	v_fma_f32 v128, v119, v127, -v213
	v_fma_f32 v136, v121, v135, -v217
	;; [unrolled: 1-line block ×3, first 2 shown]
	v_fmac_f32_e32 v214, v124, v169
	v_fmac_f32_e32 v170, v126, v191
	;; [unrolled: 1-line block ×3, first 2 shown]
	s_wait_loadcnt_dscnt 0x603
	v_mul_f32_e32 v222, v180, v198
	s_wait_loadcnt_dscnt 0x402
	v_mul_f32_e32 v224, v184, v202
	v_dual_mul_f32 v194, v133, v196 :: v_dual_fmac_f32 v137, v122, v135
	v_dual_mul_f32 v196, v179, v198 :: v_dual_mul_f32 v223, v182, v200
	v_mul_f32_e32 v198, v181, v200
	s_wait_loadcnt 0x3
	v_dual_mul_f32 v200, v183, v202 :: v_dual_mul_f32 v225, v186, v204
	s_wait_loadcnt_dscnt 0x201
	v_mul_f32_e32 v226, v188, v206
	v_mul_f32_e32 v202, v185, v204
	s_wait_loadcnt 0x1
	v_dual_mul_f32 v204, v187, v206 :: v_dual_mul_f32 v227, v190, v208
	v_mul_f32_e32 v206, v189, v208
	s_wait_loadcnt_dscnt 0x0
	v_mul_f32_e32 v228, v212, v210
	v_mul_f32_e32 v208, v211, v210
	v_fma_f32 v169, v125, v191, -v219
	v_fma_f32 v191, v131, v193, -v220
	;; [unrolled: 1-line block ×3, first 2 shown]
	v_fmac_f32_e32 v194, v134, v195
	v_fma_f32 v195, v179, v197, -v222
	v_fmac_f32_e32 v196, v180, v197
	v_fma_f32 v197, v181, v199, -v223
	;; [unrolled: 2-line block ×7, first 2 shown]
	v_fmac_f32_e32 v208, v212, v209
	ds_store_2addr_b64 v171, v[128:129], v[136:137] offset0:91 offset1:238
	ds_store_2addr_b64 v117, v[213:214], v[169:170] offset0:1 offset1:148
	;; [unrolled: 1-line block ×6, first 2 shown]
	ds_store_b64 v171, v[207:208] offset:14840
.LBB0_9:
	s_wait_alu 0xfffe
	s_or_b32 exec_lo, exec_lo, s2
	global_wb scope:SCOPE_SE
	s_wait_dscnt 0x0
	s_barrier_signal -1
	s_barrier_wait -1
	global_inv scope:SCOPE_SE
	ds_load_2addr_b64 v[134:137], v171 offset1:147
	ds_load_2addr_b64 v[126:129], v118 offset0:38 offset1:185
	ds_load_2addr_b64 v[118:121], v109 offset0:76 offset1:223
	;; [unrolled: 1-line block ×5, first 2 shown]
	ds_load_b64 v[169:170], v171 offset:14112
	s_and_saveexec_b32 s0, vcc_lo
	s_cbranch_execz .LBB0_11
; %bb.10:
	v_add_nc_u32_e32 v0, 0x1c00, v171
	v_add_nc_u32_e32 v2, 0xc00, v171
	ds_load_2addr_b64 v[106:109], v0 offset0:77 offset1:224
	v_add_nc_u32_e32 v1, 0x1400, v171
	v_add_nc_u32_e32 v0, 0x2600, v171
	s_wait_dscnt 0x0
	v_mov_b32_e32 v96, v108
	ds_load_2addr_b64 v[102:105], v1 offset0:39 offset1:186
	v_add_nc_u32_e32 v1, 0x3000, v171
	ds_load_2addr_b64 v[98:101], v171 offset0:91 offset1:238
	ds_load_b64 v[167:168], v171 offset:14840
	ds_load_2addr_b64 v[110:113], v2 offset0:1 offset1:148
	ds_load_2addr_b64 v[4:7], v0 offset0:51 offset1:198
	;; [unrolled: 1-line block ×3, first 2 shown]
	v_mov_b32_e32 v97, v109
.LBB0_11:
	s_wait_alu 0xfffe
	s_or_b32 exec_lo, exec_lo, s0
	s_wait_dscnt 0x6
	v_dual_add_f32 v108, v134, v136 :: v_dual_add_f32 v109, v135, v137
	s_wait_dscnt 0x0
	v_add_f32_e32 v179, v169, v136
	v_dual_sub_f32 v180, v137, v170 :: v_dual_add_f32 v137, v170, v137
	s_delay_alu instid0(VALU_DEP_3)
	v_dual_add_f32 v108, v108, v126 :: v_dual_add_f32 v109, v109, v127
	v_sub_f32_e32 v136, v136, v169
	global_wb scope:SCOPE_SE
	s_barrier_signal -1
	v_dual_add_f32 v108, v108, v128 :: v_dual_add_f32 v109, v109, v129
	v_mul_f32_e32 v181, 0xbeedf032, v180
	v_mul_f32_e32 v182, 0x3f62ad3f, v137
	s_barrier_wait -1
	s_delay_alu instid0(VALU_DEP_3)
	v_dual_add_f32 v108, v108, v118 :: v_dual_add_f32 v109, v109, v119
	global_inv scope:SCOPE_SE
	v_mul_f32_e32 v195, 0xbf29c268, v180
	v_mul_f32_e32 v196, 0xbf3f9e67, v137
	v_dual_add_f32 v108, v108, v120 :: v_dual_add_f32 v109, v109, v121
	v_mul_f32_e32 v183, 0xbf52af12, v180
	v_mul_f32_e32 v184, 0x3f116cb1, v137
	s_delay_alu instid0(VALU_DEP_3) | instskip(NEXT) | instid1(VALU_DEP_4)
	v_dual_fmamk_f32 v197, v179, 0xbf3f9e67, v195 :: v_dual_add_f32 v108, v108, v114
	v_dual_add_f32 v109, v109, v115 :: v_dual_fmamk_f32 v188, v179, 0x3f62ad3f, v181
	v_fma_f32 v181, 0x3f62ad3f, v179, -v181
	v_fmamk_f32 v190, v179, 0x3f116cb1, v183
	v_fma_f32 v183, 0x3f116cb1, v179, -v183
	s_delay_alu instid0(VALU_DEP_4) | instskip(SKIP_2) | instid1(VALU_DEP_3)
	v_add_f32_e32 v109, v109, v117
	v_dual_fmamk_f32 v189, v136, 0x3eedf032, v182 :: v_dual_add_f32 v188, v134, v188
	v_add_f32_e32 v108, v108, v116
	v_dual_mul_f32 v186, 0x3df6dbef, v137 :: v_dual_add_f32 v109, v109, v123
	s_delay_alu instid0(VALU_DEP_3) | instskip(NEXT) | instid1(VALU_DEP_3)
	v_add_f32_e32 v189, v135, v189
	v_dual_mul_f32 v185, 0xbf7e222b, v180 :: v_dual_add_f32 v108, v108, v122
	s_delay_alu instid0(VALU_DEP_3) | instskip(SKIP_2) | instid1(VALU_DEP_4)
	v_dual_fmac_f32 v182, 0xbeedf032, v136 :: v_dual_add_f32 v109, v109, v125
	v_fmamk_f32 v191, v136, 0x3f52af12, v184
	v_fmac_f32_e32 v184, 0xbf52af12, v136
	v_dual_add_f32 v108, v108, v124 :: v_dual_add_f32 v183, v134, v183
	v_mul_f32_e32 v187, 0xbf6f5d39, v180
	v_dual_add_f32 v109, v109, v131 :: v_dual_fmamk_f32 v192, v179, 0x3df6dbef, v185
	s_delay_alu instid0(VALU_DEP_3) | instskip(SKIP_1) | instid1(VALU_DEP_2)
	v_dual_add_f32 v108, v108, v130 :: v_dual_add_f32 v181, v134, v181
	v_dual_fmamk_f32 v193, v136, 0x3f7e222b, v186 :: v_dual_add_f32 v190, v134, v190
	v_dual_add_f32 v109, v109, v133 :: v_dual_add_f32 v108, v108, v132
	s_delay_alu instid0(VALU_DEP_4) | instskip(SKIP_1) | instid1(VALU_DEP_3)
	v_add_f32_e32 v192, v134, v192
	v_fma_f32 v185, 0x3df6dbef, v179, -v185
	v_dual_mul_f32 v180, 0xbe750f2a, v180 :: v_dual_add_f32 v109, v109, v170
	s_delay_alu instid0(VALU_DEP_4)
	v_dual_add_f32 v108, v108, v169 :: v_dual_fmamk_f32 v169, v179, 0xbeb58ec6, v187
	v_fma_f32 v187, 0xbeb58ec6, v179, -v187
	v_mul_f32_e32 v170, 0xbeb58ec6, v137
	v_fma_f32 v195, 0xbf3f9e67, v179, -v195
	v_fmamk_f32 v198, v136, 0x3f29c268, v196
	v_mul_f32_e32 v137, 0xbf788fa5, v137
	v_add_f32_e32 v187, v134, v187
	v_dual_add_f32 v193, v135, v193 :: v_dual_fmamk_f32 v194, v136, 0x3f6f5d39, v170
	v_dual_sub_f32 v200, v127, v133 :: v_dual_add_f32 v127, v133, v127
	v_add_f32_e32 v182, v135, v182
	v_dual_fmac_f32 v186, 0xbf7e222b, v136 :: v_dual_add_f32 v191, v135, v191
	s_delay_alu instid0(VALU_DEP_4)
	v_add_f32_e32 v194, v135, v194
	v_dual_add_f32 v184, v135, v184 :: v_dual_add_f32 v185, v134, v185
	v_dual_fmac_f32 v170, 0xbf6f5d39, v136 :: v_dual_add_f32 v197, v134, v197
	v_dual_fmamk_f32 v199, v179, 0xbf788fa5, v180 :: v_dual_add_f32 v202, v132, v126
	v_dual_add_f32 v195, v134, v195 :: v_dual_add_f32 v198, v135, v198
	v_fmamk_f32 v201, v136, 0x3e750f2a, v137
	v_fmac_f32_e32 v196, 0xbf29c268, v136
	v_fma_f32 v133, 0xbf788fa5, v179, -v180
	v_fmac_f32_e32 v137, 0xbe750f2a, v136
	v_mul_f32_e32 v203, 0xbf52af12, v200
	v_sub_f32_e32 v126, v126, v132
	v_mul_f32_e32 v136, 0x3f116cb1, v127
	v_dual_add_f32 v186, v135, v186 :: v_dual_add_f32 v169, v134, v169
	v_dual_add_f32 v170, v135, v170 :: v_dual_add_f32 v199, v134, v199
	v_add_f32_e32 v179, v135, v201
	v_dual_add_f32 v196, v135, v196 :: v_dual_add_f32 v133, v134, v133
	v_dual_add_f32 v134, v135, v137 :: v_dual_mul_f32 v137, 0xbf6f5d39, v200
	v_fma_f32 v180, 0x3f116cb1, v202, -v203
	s_delay_alu instid0(VALU_DEP_1) | instskip(NEXT) | instid1(VALU_DEP_1)
	v_dual_fmamk_f32 v135, v126, 0x3f52af12, v136 :: v_dual_add_f32 v180, v180, v181
	v_add_f32_e32 v135, v135, v189
	s_delay_alu instid0(VALU_DEP_4) | instskip(SKIP_2) | instid1(VALU_DEP_2)
	v_fmamk_f32 v189, v202, 0xbeb58ec6, v137
	v_fmamk_f32 v132, v202, 0x3f116cb1, v203
	v_fma_f32 v137, 0xbeb58ec6, v202, -v137
	v_dual_add_f32 v189, v189, v190 :: v_dual_add_f32 v132, v132, v188
	v_mul_f32_e32 v188, 0xbeb58ec6, v127
	s_delay_alu instid0(VALU_DEP_3) | instskip(NEXT) | instid1(VALU_DEP_2)
	v_add_f32_e32 v137, v137, v183
	v_fmamk_f32 v181, v126, 0x3f6f5d39, v188
	s_delay_alu instid0(VALU_DEP_1) | instskip(NEXT) | instid1(VALU_DEP_1)
	v_dual_fmac_f32 v188, 0xbf6f5d39, v126 :: v_dual_add_f32 v181, v181, v191
	v_dual_add_f32 v183, v188, v184 :: v_dual_fmac_f32 v136, 0xbf52af12, v126
	s_delay_alu instid0(VALU_DEP_1) | instskip(SKIP_1) | instid1(VALU_DEP_1)
	v_dual_mul_f32 v191, 0xbf788fa5, v127 :: v_dual_add_f32 v136, v136, v182
	v_mul_f32_e32 v182, 0xbe750f2a, v200
	v_fmamk_f32 v190, v202, 0xbf788fa5, v182
	s_delay_alu instid0(VALU_DEP_1) | instskip(NEXT) | instid1(VALU_DEP_4)
	v_add_f32_e32 v188, v190, v192
	v_fmamk_f32 v190, v126, 0x3e750f2a, v191
	v_fmac_f32_e32 v191, 0xbe750f2a, v126
	v_fma_f32 v182, 0xbf788fa5, v202, -v182
	s_delay_alu instid0(VALU_DEP_3) | instskip(SKIP_1) | instid1(VALU_DEP_3)
	v_dual_mul_f32 v201, 0xbf3f9e67, v127 :: v_dual_add_f32 v190, v190, v193
	v_mul_f32_e32 v184, 0x3f29c268, v200
	v_dual_add_f32 v182, v182, v185 :: v_dual_add_f32 v185, v191, v186
	v_mul_f32_e32 v191, 0x3f7e222b, v200
	s_delay_alu instid0(VALU_DEP_1)
	v_fmamk_f32 v193, v202, 0x3df6dbef, v191
	v_fma_f32 v191, 0x3df6dbef, v202, -v191
	v_fmamk_f32 v186, v126, 0xbf29c268, v201
	v_fmac_f32_e32 v201, 0x3f29c268, v126
	v_fmamk_f32 v192, v202, 0xbf3f9e67, v184
	v_fma_f32 v184, 0xbf3f9e67, v202, -v184
	s_delay_alu instid0(VALU_DEP_4) | instskip(SKIP_1) | instid1(VALU_DEP_4)
	v_dual_add_f32 v191, v191, v195 :: v_dual_add_f32 v186, v186, v194
	v_dual_mul_f32 v194, 0x3eedf032, v200 :: v_dual_sub_f32 v195, v129, v131
	v_dual_add_f32 v169, v192, v169 :: v_dual_mul_f32 v192, 0x3df6dbef, v127
	s_delay_alu instid0(VALU_DEP_4) | instskip(SKIP_2) | instid1(VALU_DEP_4)
	v_dual_add_f32 v129, v131, v129 :: v_dual_add_f32 v184, v184, v187
	v_add_f32_e32 v170, v201, v170
	v_add_f32_e32 v193, v193, v197
	v_fmamk_f32 v187, v126, 0xbf7e222b, v192
	v_fmac_f32_e32 v192, 0x3f7e222b, v126
	v_fmamk_f32 v197, v202, 0x3f62ad3f, v194
	v_mul_f32_e32 v127, 0x3f62ad3f, v127
	v_fma_f32 v131, 0x3f62ad3f, v202, -v194
	s_delay_alu instid0(VALU_DEP_4) | instskip(NEXT) | instid1(VALU_DEP_3)
	v_dual_add_f32 v192, v192, v196 :: v_dual_add_f32 v187, v187, v198
	v_dual_add_f32 v196, v197, v199 :: v_dual_fmamk_f32 v197, v126, 0xbeedf032, v127
	v_dual_add_f32 v198, v130, v128 :: v_dual_mul_f32 v199, 0xbf7e222b, v195
	v_fmac_f32_e32 v127, 0x3eedf032, v126
	v_dual_sub_f32 v126, v128, v130 :: v_dual_add_f32 v131, v131, v133
	s_delay_alu instid0(VALU_DEP_3) | instskip(NEXT) | instid1(VALU_DEP_1)
	v_dual_add_f32 v179, v197, v179 :: v_dual_fmamk_f32 v128, v198, 0x3df6dbef, v199
	v_add_f32_e32 v128, v128, v132
	s_delay_alu instid0(VALU_DEP_4) | instskip(SKIP_2) | instid1(VALU_DEP_3)
	v_dual_mul_f32 v130, 0x3df6dbef, v129 :: v_dual_add_f32 v127, v127, v134
	v_fma_f32 v134, 0x3df6dbef, v198, -v199
	v_mul_f32_e32 v133, 0xbe750f2a, v195
	v_fmamk_f32 v132, v126, 0x3f7e222b, v130
	s_delay_alu instid0(VALU_DEP_3) | instskip(SKIP_2) | instid1(VALU_DEP_4)
	v_add_f32_e32 v134, v134, v180
	v_mul_f32_e32 v194, 0xbf788fa5, v129
	v_mul_f32_e32 v180, 0x3f6f5d39, v195
	v_dual_add_f32 v132, v132, v135 :: v_dual_fmamk_f32 v135, v198, 0xbf788fa5, v133
	v_fma_f32 v133, 0xbf788fa5, v198, -v133
	s_delay_alu instid0(VALU_DEP_2) | instskip(NEXT) | instid1(VALU_DEP_1)
	v_dual_fmac_f32 v130, 0xbf7e222b, v126 :: v_dual_add_f32 v135, v135, v189
	v_dual_add_f32 v133, v133, v137 :: v_dual_add_f32 v130, v130, v136
	v_mul_f32_e32 v189, 0xbeb58ec6, v129
	v_fmamk_f32 v136, v126, 0x3e750f2a, v194
	v_fmac_f32_e32 v194, 0xbe750f2a, v126
	s_delay_alu instid0(VALU_DEP_1) | instskip(SKIP_1) | instid1(VALU_DEP_1)
	v_dual_add_f32 v136, v136, v181 :: v_dual_add_f32 v137, v194, v183
	v_fmamk_f32 v181, v198, 0xbeb58ec6, v180
	v_dual_add_f32 v181, v181, v188 :: v_dual_fmamk_f32 v188, v126, 0xbf6f5d39, v189
	v_fmac_f32_e32 v189, 0x3f6f5d39, v126
	v_fma_f32 v180, 0xbeb58ec6, v198, -v180
	s_delay_alu instid0(VALU_DEP_1) | instskip(NEXT) | instid1(VALU_DEP_1)
	v_dual_mul_f32 v197, 0x3f62ad3f, v129 :: v_dual_add_f32 v180, v180, v182
	v_dual_add_f32 v182, v189, v185 :: v_dual_fmamk_f32 v185, v126, 0xbeedf032, v197
	v_mul_f32_e32 v189, 0xbf52af12, v195
	s_delay_alu instid0(VALU_DEP_2) | instskip(SKIP_1) | instid1(VALU_DEP_3)
	v_add_f32_e32 v185, v185, v186
	v_dual_mul_f32 v183, 0x3eedf032, v195 :: v_dual_add_f32 v188, v188, v190
	v_fmamk_f32 v186, v198, 0x3f116cb1, v189
	v_mul_f32_e32 v190, 0x3f116cb1, v129
	v_mul_f32_e32 v129, 0xbf3f9e67, v129
	s_delay_alu instid0(VALU_DEP_3) | instskip(SKIP_4) | instid1(VALU_DEP_4)
	v_add_f32_e32 v186, v186, v193
	v_fma_f32 v189, 0x3f116cb1, v198, -v189
	v_fmamk_f32 v194, v198, 0x3f62ad3f, v183
	v_fma_f32 v183, 0x3f62ad3f, v198, -v183
	v_dual_add_f32 v193, v124, v118 :: v_dual_sub_f32 v118, v118, v124
	v_add_f32_e32 v189, v189, v191
	v_sub_f32_e32 v191, v119, v125
	s_delay_alu instid0(VALU_DEP_4) | instskip(SKIP_2) | instid1(VALU_DEP_3)
	v_dual_add_f32 v183, v183, v184 :: v_dual_fmamk_f32 v184, v126, 0x3f52af12, v190
	v_fmac_f32_e32 v197, 0x3eedf032, v126
	v_add_f32_e32 v119, v125, v119
	v_dual_add_f32 v184, v184, v187 :: v_dual_add_f32 v169, v194, v169
	s_delay_alu instid0(VALU_DEP_3) | instskip(SKIP_2) | instid1(VALU_DEP_1)
	v_add_f32_e32 v170, v197, v170
	v_mul_f32_e32 v194, 0xbf29c268, v195
	v_mul_f32_e32 v195, 0xbf6f5d39, v191
	v_fmamk_f32 v124, v193, 0xbeb58ec6, v195
	s_delay_alu instid0(VALU_DEP_1) | instskip(NEXT) | instid1(VALU_DEP_1)
	v_dual_fmamk_f32 v187, v198, 0xbf3f9e67, v194 :: v_dual_add_f32 v124, v124, v128
	v_dual_add_f32 v187, v187, v196 :: v_dual_fmac_f32 v190, 0xbf52af12, v126
	s_delay_alu instid0(VALU_DEP_1) | instskip(SKIP_4) | instid1(VALU_DEP_2)
	v_add_f32_e32 v190, v190, v192
	v_fmamk_f32 v192, v126, 0x3f29c268, v129
	v_fmac_f32_e32 v129, 0xbf29c268, v126
	v_fma_f32 v125, 0xbf3f9e67, v198, -v194
	v_mul_f32_e32 v194, 0x3df6dbef, v119
	v_add_f32_e32 v125, v125, v131
	v_fma_f32 v131, 0xbeb58ec6, v193, -v195
	v_mul_f32_e32 v126, 0xbeb58ec6, v119
	v_add_f32_e32 v179, v192, v179
	s_delay_alu instid0(VALU_DEP_3) | instskip(NEXT) | instid1(VALU_DEP_3)
	v_add_f32_e32 v131, v131, v134
	v_dual_add_f32 v127, v129, v127 :: v_dual_fmamk_f32 v128, v118, 0x3f6f5d39, v126
	v_mul_f32_e32 v129, 0x3f29c268, v191
	v_mul_f32_e32 v134, 0x3eedf032, v191
	s_delay_alu instid0(VALU_DEP_3) | instskip(NEXT) | instid1(VALU_DEP_3)
	v_add_f32_e32 v128, v128, v132
	v_fmamk_f32 v132, v193, 0xbf3f9e67, v129
	v_fma_f32 v129, 0xbf3f9e67, v193, -v129
	v_fmac_f32_e32 v126, 0xbf6f5d39, v118
	s_delay_alu instid0(VALU_DEP_3) | instskip(NEXT) | instid1(VALU_DEP_3)
	v_dual_add_f32 v132, v132, v135 :: v_dual_fmamk_f32 v135, v193, 0x3f62ad3f, v134
	v_dual_mul_f32 v192, 0xbf3f9e67, v119 :: v_dual_add_f32 v129, v129, v133
	s_delay_alu instid0(VALU_DEP_2) | instskip(NEXT) | instid1(VALU_DEP_2)
	v_dual_add_f32 v126, v126, v130 :: v_dual_add_f32 v135, v135, v181
	v_fmamk_f32 v130, v118, 0xbf29c268, v192
	v_fmac_f32_e32 v192, 0x3f29c268, v118
	s_delay_alu instid0(VALU_DEP_2) | instskip(NEXT) | instid1(VALU_DEP_2)
	v_add_f32_e32 v130, v130, v136
	v_dual_mul_f32 v136, 0x3f62ad3f, v119 :: v_dual_add_f32 v133, v192, v137
	v_mul_f32_e32 v137, 0xbf7e222b, v191
	s_delay_alu instid0(VALU_DEP_2) | instskip(NEXT) | instid1(VALU_DEP_2)
	v_fmamk_f32 v181, v118, 0xbeedf032, v136
	v_fmamk_f32 v192, v193, 0x3df6dbef, v137
	v_fma_f32 v137, 0x3df6dbef, v193, -v137
	s_delay_alu instid0(VALU_DEP_3) | instskip(NEXT) | instid1(VALU_DEP_3)
	v_dual_add_f32 v181, v181, v188 :: v_dual_mul_f32 v188, 0xbf788fa5, v119
	v_add_f32_e32 v169, v192, v169
	s_delay_alu instid0(VALU_DEP_3) | instskip(SKIP_4) | instid1(VALU_DEP_2)
	v_add_f32_e32 v137, v137, v183
	v_fma_f32 v134, 0x3f62ad3f, v193, -v134
	v_mul_f32_e32 v119, 0x3f116cb1, v119
	v_fmamk_f32 v183, v118, 0xbe750f2a, v188
	v_fmac_f32_e32 v136, 0x3eedf032, v118
	v_dual_fmac_f32 v188, 0x3e750f2a, v118 :: v_dual_add_f32 v183, v183, v184
	s_delay_alu instid0(VALU_DEP_2) | instskip(SKIP_2) | instid1(VALU_DEP_4)
	v_add_f32_e32 v136, v136, v182
	v_mul_f32_e32 v182, 0x3e750f2a, v191
	v_dual_mul_f32 v191, 0x3f52af12, v191 :: v_dual_add_f32 v134, v134, v180
	v_add_f32_e32 v188, v188, v190
	s_delay_alu instid0(VALU_DEP_2) | instskip(NEXT) | instid1(VALU_DEP_1)
	v_fmamk_f32 v184, v193, 0x3f116cb1, v191
	v_dual_add_f32 v184, v184, v187 :: v_dual_fmamk_f32 v187, v118, 0xbf52af12, v119
	v_fmamk_f32 v180, v118, 0x3f7e222b, v194
	v_fmac_f32_e32 v119, 0x3f52af12, v118
	s_delay_alu instid0(VALU_DEP_2) | instskip(SKIP_1) | instid1(VALU_DEP_3)
	v_dual_add_f32 v179, v187, v179 :: v_dual_add_f32 v180, v180, v185
	v_fmamk_f32 v185, v193, 0xbf788fa5, v182
	v_add_f32_e32 v119, v119, v127
	s_delay_alu instid0(VALU_DEP_2) | instskip(SKIP_3) | instid1(VALU_DEP_3)
	v_add_f32_e32 v185, v185, v186
	v_dual_sub_f32 v186, v121, v123 :: v_dual_add_f32 v121, v123, v121
	v_fma_f32 v123, 0x3f116cb1, v193, -v191
	v_fmac_f32_e32 v194, 0xbf7e222b, v118
	v_mul_f32_e32 v190, 0xbf29c268, v186
	s_delay_alu instid0(VALU_DEP_4) | instskip(NEXT) | instid1(VALU_DEP_4)
	v_mul_f32_e32 v187, 0x3df6dbef, v121
	v_add_f32_e32 v123, v123, v125
	v_fma_f32 v182, 0xbf788fa5, v193, -v182
	v_add_f32_e32 v170, v194, v170
	s_delay_alu instid0(VALU_DEP_2) | instskip(SKIP_2) | instid1(VALU_DEP_2)
	v_dual_mul_f32 v125, 0x3f7e222b, v186 :: v_dual_add_f32 v182, v182, v189
	v_dual_add_f32 v189, v122, v120 :: v_dual_sub_f32 v118, v120, v122
	v_mul_f32_e32 v122, 0xbf3f9e67, v121
	v_fmamk_f32 v120, v189, 0xbf3f9e67, v190
	s_delay_alu instid0(VALU_DEP_1) | instskip(NEXT) | instid1(VALU_DEP_3)
	v_add_f32_e32 v120, v120, v124
	v_fmamk_f32 v124, v118, 0x3f29c268, v122
	v_fmac_f32_e32 v122, 0xbf29c268, v118
	s_delay_alu instid0(VALU_DEP_2) | instskip(SKIP_1) | instid1(VALU_DEP_3)
	v_add_f32_e32 v124, v124, v128
	v_fmamk_f32 v128, v189, 0x3df6dbef, v125
	v_add_f32_e32 v122, v122, v126
	v_fmamk_f32 v126, v118, 0xbf7e222b, v187
	v_fma_f32 v125, 0x3df6dbef, v189, -v125
	v_fmac_f32_e32 v187, 0x3f7e222b, v118
	s_delay_alu instid0(VALU_DEP_2) | instskip(NEXT) | instid1(VALU_DEP_2)
	v_dual_add_f32 v126, v126, v130 :: v_dual_add_f32 v125, v125, v129
	v_add_f32_e32 v129, v187, v133
	v_fma_f32 v127, 0xbf3f9e67, v189, -v190
	v_mul_f32_e32 v133, 0x3e750f2a, v186
	s_delay_alu instid0(VALU_DEP_2) | instskip(SKIP_1) | instid1(VALU_DEP_3)
	v_add_f32_e32 v127, v127, v131
	v_mul_f32_e32 v131, 0xbf52af12, v186
	v_dual_fmamk_f32 v187, v189, 0xbf788fa5, v133 :: v_dual_add_f32 v128, v128, v132
	v_mul_f32_e32 v132, 0x3f116cb1, v121
	v_fma_f32 v133, 0xbf788fa5, v189, -v133
	s_delay_alu instid0(VALU_DEP_4) | instskip(SKIP_1) | instid1(VALU_DEP_2)
	v_fmamk_f32 v130, v189, 0x3f116cb1, v131
	v_fma_f32 v131, 0x3f116cb1, v189, -v131
	v_dual_add_f32 v133, v133, v137 :: v_dual_add_f32 v130, v130, v135
	v_fmamk_f32 v135, v118, 0x3f52af12, v132
	s_delay_alu instid0(VALU_DEP_3) | instskip(NEXT) | instid1(VALU_DEP_2)
	v_add_f32_e32 v131, v131, v134
	v_add_f32_e32 v135, v135, v181
	v_mul_f32_e32 v181, 0x3f62ad3f, v121
	v_dual_add_f32 v134, v187, v169 :: v_dual_mul_f32 v169, 0x3eedf032, v186
	v_mul_f32_e32 v186, 0xbf6f5d39, v186
	s_delay_alu instid0(VALU_DEP_3) | instskip(SKIP_1) | instid1(VALU_DEP_2)
	v_fmamk_f32 v137, v118, 0xbeedf032, v181
	v_fmac_f32_e32 v181, 0x3eedf032, v118
	v_add_f32_e32 v137, v137, v183
	s_delay_alu instid0(VALU_DEP_4) | instskip(NEXT) | instid1(VALU_DEP_3)
	v_fmamk_f32 v183, v189, 0xbeb58ec6, v186
	v_add_f32_e32 v181, v181, v188
	v_add_f32_e32 v188, v117, v115
	v_mul_f32_e32 v190, 0xbf788fa5, v121
	v_mul_f32_e32 v121, 0xbeb58ec6, v121
	s_delay_alu instid0(VALU_DEP_1) | instskip(SKIP_2) | instid1(VALU_DEP_3)
	v_dual_add_f32 v183, v183, v184 :: v_dual_fmamk_f32 v184, v118, 0x3f6f5d39, v121
	v_fmac_f32_e32 v132, 0xbf52af12, v118
	v_fmac_f32_e32 v121, 0xbf6f5d39, v118
	v_add_f32_e32 v179, v184, v179
	s_delay_alu instid0(VALU_DEP_3) | instskip(SKIP_1) | instid1(VALU_DEP_1)
	v_add_f32_e32 v132, v132, v136
	v_fmamk_f32 v136, v118, 0xbe750f2a, v190
	v_add_f32_e32 v136, v136, v180
	v_fmamk_f32 v180, v189, 0x3f62ad3f, v169
	v_fma_f32 v169, 0x3f62ad3f, v189, -v169
	s_delay_alu instid0(VALU_DEP_1)
	v_dual_add_f32 v169, v169, v182 :: v_dual_sub_f32 v182, v115, v117
	v_fma_f32 v115, 0xbeb58ec6, v189, -v186
	v_sub_f32_e32 v186, v114, v116
	v_mul_f32_e32 v117, 0xbf788fa5, v188
	v_add_f32_e32 v189, v121, v119
	v_dual_mul_f32 v121, 0x3f62ad3f, v188 :: v_dual_add_f32 v180, v180, v185
	v_add_f32_e32 v185, v116, v114
	v_mul_f32_e32 v187, 0xbe750f2a, v182
	v_fmac_f32_e32 v190, 0x3e750f2a, v118
	v_dual_add_f32 v184, v115, v123 :: v_dual_mul_f32 v123, 0xbf29c268, v182
	v_fmamk_f32 v115, v186, 0x3e750f2a, v117
	s_delay_alu instid0(VALU_DEP_4) | instskip(SKIP_2) | instid1(VALU_DEP_4)
	v_fmamk_f32 v114, v185, 0xbf788fa5, v187
	v_mul_f32_e32 v119, 0x3eedf032, v182
	v_fmac_f32_e32 v117, 0xbe750f2a, v186
	v_dual_add_f32 v170, v190, v170 :: v_dual_add_f32 v115, v115, v124
	s_delay_alu instid0(VALU_DEP_4)
	v_add_f32_e32 v114, v114, v120
	v_fmamk_f32 v120, v186, 0xbeedf032, v121
	v_fma_f32 v116, 0xbf788fa5, v185, -v187
	v_fmamk_f32 v118, v185, 0x3f62ad3f, v119
	v_add_f32_e32 v117, v117, v122
	v_fma_f32 v122, 0x3f62ad3f, v185, -v119
	v_dual_add_f32 v119, v120, v126 :: v_dual_fmamk_f32 v124, v185, 0xbf3f9e67, v123
	v_mul_f32_e32 v126, 0xbf3f9e67, v188
	v_dual_add_f32 v116, v116, v127 :: v_dual_mul_f32 v127, 0x3f52af12, v182
	s_delay_alu instid0(VALU_DEP_4) | instskip(NEXT) | instid1(VALU_DEP_4)
	v_dual_fmac_f32 v121, 0x3eedf032, v186 :: v_dual_add_f32 v120, v122, v125
	v_add_f32_e32 v122, v124, v130
	s_delay_alu instid0(VALU_DEP_4) | instskip(SKIP_1) | instid1(VALU_DEP_4)
	v_fmamk_f32 v124, v186, 0x3f29c268, v126
	v_fma_f32 v125, 0xbf3f9e67, v185, -v123
	v_dual_add_f32 v121, v121, v129 :: v_dual_fmac_f32 v126, 0xbf29c268, v186
	v_mul_f32_e32 v129, 0x3f116cb1, v188
	s_delay_alu instid0(VALU_DEP_4) | instskip(SKIP_3) | instid1(VALU_DEP_3)
	v_dual_add_f32 v123, v124, v135 :: v_dual_add_f32 v118, v118, v128
	v_fmamk_f32 v128, v185, 0x3f116cb1, v127
	v_dual_add_f32 v124, v125, v131 :: v_dual_mul_f32 v135, 0x3f7e222b, v182
	v_dual_add_f32 v125, v126, v132 :: v_dual_mul_f32 v130, 0xbf6f5d39, v182
	v_add_f32_e32 v126, v128, v134
	v_fmamk_f32 v128, v186, 0xbf52af12, v129
	v_fma_f32 v131, 0x3f116cb1, v185, -v127
	v_fmac_f32_e32 v129, 0x3f52af12, v186
	v_mul_f32_e32 v134, 0xbeb58ec6, v188
	s_delay_alu instid0(VALU_DEP_4) | instskip(NEXT) | instid1(VALU_DEP_3)
	v_dual_fmamk_f32 v132, v185, 0xbeb58ec6, v130 :: v_dual_add_f32 v127, v128, v136
	v_dual_add_f32 v128, v131, v133 :: v_dual_add_f32 v129, v129, v170
	s_delay_alu instid0(VALU_DEP_3) | instskip(SKIP_3) | instid1(VALU_DEP_4)
	v_fmamk_f32 v131, v186, 0x3f6f5d39, v134
	v_fma_f32 v133, 0xbeb58ec6, v185, -v130
	v_mul_f32_e32 v170, 0x3df6dbef, v188
	v_add_f32_e32 v130, v132, v180
	v_dual_fmac_f32 v134, 0xbf6f5d39, v186 :: v_dual_add_f32 v131, v131, v137
	s_delay_alu instid0(VALU_DEP_4) | instskip(SKIP_4) | instid1(VALU_DEP_4)
	v_add_f32_e32 v132, v133, v169
	v_fmamk_f32 v136, v185, 0x3df6dbef, v135
	v_fmamk_f32 v137, v186, 0xbf7e222b, v170
	v_fma_f32 v169, 0x3df6dbef, v185, -v135
	v_dual_fmac_f32 v170, 0x3f7e222b, v186 :: v_dual_add_f32 v133, v134, v181
	v_add_f32_e32 v134, v136, v183
	s_delay_alu instid0(VALU_DEP_4) | instskip(NEXT) | instid1(VALU_DEP_3)
	v_add_f32_e32 v135, v137, v179
	v_dual_add_f32 v136, v169, v184 :: v_dual_add_f32 v137, v170, v189
	ds_store_2addr_b64 v177, v[108:109], v[114:115] offset1:1
	ds_store_2addr_b64 v177, v[118:119], v[122:123] offset0:2 offset1:3
	ds_store_2addr_b64 v177, v[126:127], v[130:131] offset0:4 offset1:5
	;; [unrolled: 1-line block ×5, first 2 shown]
	ds_store_b64 v177, v[116:117] offset:96
	s_and_saveexec_b32 s0, vcc_lo
	s_cbranch_execz .LBB0_13
; %bb.12:
	v_dual_add_f32 v132, v168, v101 :: v_dual_add_f32 v133, v3, v111
	v_dual_sub_f32 v122, v100, v167 :: v_dual_sub_f32 v119, v110, v2
	s_delay_alu instid0(VALU_DEP_2) | instskip(NEXT) | instid1(VALU_DEP_3)
	v_dual_add_f32 v134, v1, v113 :: v_dual_mul_f32 v135, 0xbf788fa5, v132
	v_dual_sub_f32 v120, v112, v0 :: v_dual_mul_f32 v137, 0x3f62ad3f, v133
	v_dual_add_f32 v136, v7, v103 :: v_dual_add_f32 v169, v5, v105
	s_delay_alu instid0(VALU_DEP_3)
	v_dual_fmamk_f32 v108, v122, 0x3e750f2a, v135 :: v_dual_sub_f32 v177, v101, v168
	v_dual_sub_f32 v118, v102, v6 :: v_dual_sub_f32 v121, v104, v4
	v_dual_mul_f32 v170, 0xbf3f9e67, v134 :: v_dual_add_f32 v123, v167, v100
	v_dual_fmamk_f32 v109, v119, 0xbeedf032, v137 :: v_dual_add_f32 v124, v2, v110
	v_dual_mul_f32 v179, 0x3f116cb1, v136 :: v_dual_sub_f32 v186, v103, v7
	v_add_f32_e32 v108, v99, v108
	s_delay_alu instid0(VALU_DEP_4) | instskip(SKIP_1) | instid1(VALU_DEP_3)
	v_dual_fmamk_f32 v114, v120, 0x3f29c268, v170 :: v_dual_sub_f32 v181, v111, v3
	v_dual_mul_f32 v180, 0xbe750f2a, v177 :: v_dual_add_f32 v125, v0, v112
	v_dual_add_f32 v108, v109, v108 :: v_dual_fmamk_f32 v109, v118, 0xbf52af12, v179
	s_delay_alu instid0(VALU_DEP_3) | instskip(NEXT) | instid1(VALU_DEP_2)
	v_dual_mul_f32 v182, 0x3eedf032, v181 :: v_dual_add_f32 v127, v6, v102
	v_dual_sub_f32 v183, v113, v1 :: v_dual_add_f32 v108, v114, v108
	s_delay_alu instid0(VALU_DEP_4) | instskip(SKIP_1) | instid1(VALU_DEP_3)
	v_dual_fmamk_f32 v114, v123, 0xbf788fa5, v180 :: v_dual_add_f32 v187, v97, v107
	v_mul_f32_e32 v184, 0xbeb58ec6, v169
	v_dual_mul_f32 v185, 0xbf29c268, v183 :: v_dual_add_f32 v108, v109, v108
	s_delay_alu instid0(VALU_DEP_3) | instskip(NEXT) | instid1(VALU_DEP_3)
	v_dual_add_f32 v109, v98, v114 :: v_dual_fmamk_f32 v114, v124, 0x3f62ad3f, v182
	v_dual_fmamk_f32 v115, v121, 0x3f6f5d39, v184 :: v_dual_sub_f32 v126, v106, v96
	v_dual_mul_f32 v189, 0x3df6dbef, v187 :: v_dual_sub_f32 v190, v105, v5
	s_delay_alu instid0(VALU_DEP_3) | instskip(SKIP_1) | instid1(VALU_DEP_3)
	v_dual_add_f32 v109, v114, v109 :: v_dual_fmamk_f32 v114, v125, 0xbf3f9e67, v185
	v_mul_f32_e32 v188, 0x3f52af12, v186
	v_dual_add_f32 v128, v4, v104 :: v_dual_mul_f32 v191, 0xbf6f5d39, v190
	s_delay_alu instid0(VALU_DEP_4) | instskip(NEXT) | instid1(VALU_DEP_3)
	v_dual_add_f32 v108, v115, v108 :: v_dual_fmamk_f32 v115, v126, 0xbf7e222b, v189
	v_dual_add_f32 v109, v114, v109 :: v_dual_fmamk_f32 v114, v127, 0x3f116cb1, v188
	v_mul_f32_e32 v195, 0x3f116cb1, v134
	v_dual_mul_f32 v192, 0xbf3f9e67, v132 :: v_dual_add_f32 v129, v96, v106
	v_mul_f32_e32 v193, 0x3df6dbef, v133
	s_delay_alu instid0(VALU_DEP_4) | instskip(SKIP_2) | instid1(VALU_DEP_4)
	v_add_f32_e32 v114, v114, v109
	v_dual_fmamk_f32 v116, v128, 0xbeb58ec6, v191 :: v_dual_mul_f32 v203, 0xbeb58ec6, v187
	v_add_f32_e32 v109, v115, v108
	v_fmamk_f32 v115, v119, 0xbf7e222b, v193
	s_delay_alu instid0(VALU_DEP_3) | instskip(SKIP_3) | instid1(VALU_DEP_4)
	v_dual_fmamk_f32 v117, v122, 0x3f29c268, v192 :: v_dual_add_f32 v108, v116, v114
	v_sub_f32_e32 v194, v107, v97
	v_mul_f32_e32 v198, 0xbf788fa5, v136
	v_mul_f32_e32 v199, 0x3f7e222b, v181
	v_add_f32_e32 v114, v99, v117
	v_mul_f32_e32 v222, 0xbf7e222b, v177
	v_mul_f32_e32 v209, 0xbf6f5d39, v177
	;; [unrolled: 1-line block ×3, first 2 shown]
	v_fmamk_f32 v130, v124, 0x3df6dbef, v199
	v_dual_add_f32 v114, v115, v114 :: v_dual_fmamk_f32 v115, v120, 0x3f52af12, v195
	v_mul_f32_e32 v196, 0x3f7e222b, v194
	v_mul_f32_e32 v197, 0xbf29c268, v177
	v_fmamk_f32 v224, v123, 0x3df6dbef, v222
	v_mul_f32_e32 v208, 0xbf6f5d39, v194
	v_add_f32_e32 v114, v115, v114
	v_fmamk_f32 v116, v129, 0x3df6dbef, v196
	v_fmamk_f32 v117, v123, 0xbf3f9e67, v197
	;; [unrolled: 1-line block ×3, first 2 shown]
	v_mul_f32_e32 v201, 0xbf52af12, v183
	v_dual_mul_f32 v225, 0xbe750f2a, v181 :: v_dual_add_f32 v224, v98, v224
	s_delay_alu instid0(VALU_DEP_4) | instskip(NEXT) | instid1(VALU_DEP_4)
	v_dual_add_f32 v108, v116, v108 :: v_dual_add_f32 v117, v98, v117
	v_add_f32_e32 v114, v115, v114
	s_delay_alu instid0(VALU_DEP_3) | instskip(SKIP_1) | instid1(VALU_DEP_4)
	v_dual_mul_f32 v212, 0xbf788fa5, v169 :: v_dual_fmamk_f32 v227, v124, 0xbf788fa5, v225
	v_mul_f32_e32 v211, 0x3f29c268, v181
	v_dual_add_f32 v116, v130, v117 :: v_dual_fmamk_f32 v117, v125, 0x3f116cb1, v201
	v_mul_f32_e32 v200, 0x3f62ad3f, v169
	v_fmamk_f32 v130, v122, 0x3f6f5d39, v204
	v_fmamk_f32 v215, v121, 0xbe750f2a, v212
	v_mul_f32_e32 v202, 0x3e750f2a, v186
	v_dual_mul_f32 v206, 0xbf3f9e67, v133 :: v_dual_fmamk_f32 v213, v124, 0xbf3f9e67, v211
	v_fmamk_f32 v115, v121, 0xbeedf032, v200
	v_mul_f32_e32 v219, 0xbf788fa5, v133
	v_mul_f32_e32 v216, 0x3df6dbef, v132
	v_dual_mul_f32 v229, 0xbf3f9e67, v187 :: v_dual_mul_f32 v236, 0xbf3f9e67, v136
	s_delay_alu instid0(VALU_DEP_4)
	v_dual_add_f32 v114, v115, v114 :: v_dual_add_f32 v115, v117, v116
	v_fmamk_f32 v117, v126, 0x3f6f5d39, v203
	v_fmamk_f32 v116, v127, 0xbf788fa5, v202
	v_mul_f32_e32 v205, 0x3eedf032, v190
	v_fmamk_f32 v231, v126, 0x3f29c268, v229
	v_fmamk_f32 v218, v122, 0x3f7e222b, v216
	v_mul_f32_e32 v210, 0x3df6dbef, v136
	v_dual_add_f32 v116, v116, v115 :: v_dual_add_f32 v115, v117, v114
	v_add_f32_e32 v114, v99, v130
	v_fmamk_f32 v130, v129, 0xbeb58ec6, v208
	v_fmamk_f32 v117, v119, 0xbf29c268, v206
	;; [unrolled: 1-line block ×3, first 2 shown]
	v_mul_f32_e32 v214, 0x3eedf032, v183
	v_mul_f32_e32 v235, 0xbf52af12, v177
	v_mul_f32_e32 v217, 0x3e750f2a, v190
	v_add_f32_e32 v114, v117, v114
	v_dual_mul_f32 v207, 0x3f62ad3f, v134 :: v_dual_add_f32 v116, v131, v116
	v_fmamk_f32 v131, v123, 0xbeb58ec6, v209
	v_fmamk_f32 v238, v123, 0x3f116cb1, v235
	v_mul_f32_e32 v239, 0xbf6f5d39, v181
	v_mul_f32_e32 v221, 0x3f52af12, v194
	s_delay_alu instid0(VALU_DEP_4) | instskip(NEXT) | instid1(VALU_DEP_4)
	v_dual_mul_f32 v226, 0x3f116cb1, v169 :: v_dual_add_f32 v131, v98, v131
	v_dual_fmamk_f32 v117, v120, 0xbeedf032, v207 :: v_dual_add_f32 v238, v98, v238
	s_delay_alu instid0(VALU_DEP_4) | instskip(NEXT) | instid1(VALU_DEP_4)
	v_fmamk_f32 v241, v124, 0xbeb58ec6, v239
	v_fmamk_f32 v223, v129, 0x3f116cb1, v221
	v_dual_mul_f32 v220, 0xbeb58ec6, v134 :: v_dual_mul_f32 v233, 0xbeb58ec6, v133
	s_delay_alu instid0(VALU_DEP_4) | instskip(SKIP_2) | instid1(VALU_DEP_3)
	v_dual_add_f32 v114, v117, v114 :: v_dual_fmamk_f32 v117, v118, 0x3f7e222b, v210
	v_dual_mul_f32 v230, 0x3f116cb1, v132 :: v_dual_add_f32 v101, v101, v99
	v_mul_f32_e32 v228, 0x3f6f5d39, v183
	v_dual_mul_f32 v240, 0x3df6dbef, v169 :: v_dual_add_f32 v117, v117, v114
	v_add_f32_e32 v114, v130, v116
	v_add_f32_e32 v116, v213, v131
	v_fmamk_f32 v130, v125, 0x3f62ad3f, v214
	v_fmamk_f32 v232, v122, 0x3f52af12, v230
	v_dual_fmamk_f32 v243, v121, 0xbf7e222b, v240 :: v_dual_add_f32 v100, v100, v98
	v_mul_f32_e32 v242, 0xbe750f2a, v183
	s_delay_alu instid0(VALU_DEP_4) | instskip(SKIP_1) | instid1(VALU_DEP_4)
	v_dual_add_f32 v116, v130, v116 :: v_dual_mul_f32 v213, 0xbf7e222b, v186
	v_add_f32_e32 v117, v215, v117
	v_dual_add_f32 v101, v111, v101 :: v_dual_add_f32 v100, v110, v100
	v_mul_f32_e32 v177, 0xbeedf032, v177
	s_delay_alu instid0(VALU_DEP_4) | instskip(SKIP_1) | instid1(VALU_DEP_4)
	v_fmamk_f32 v130, v127, 0x3df6dbef, v213
	v_fmac_f32_e32 v137, 0x3eedf032, v119
	v_dual_add_f32 v101, v113, v101 :: v_dual_add_f32 v100, v112, v100
	v_mul_f32_e32 v112, 0xbf3f9e67, v169
	s_delay_alu instid0(VALU_DEP_4)
	v_add_f32_e32 v116, v130, v116
	v_fmamk_f32 v130, v128, 0xbf788fa5, v217
	v_mul_f32_e32 v215, 0x3f116cb1, v187
	v_add_f32_e32 v101, v103, v101
	v_fmamk_f32 v113, v121, 0x3f29c268, v112
	v_mul_f32_e32 v246, 0x3f116cb1, v133
	v_add_f32_e32 v116, v130, v116
	v_fmamk_f32 v131, v126, 0xbf52af12, v215
	v_dual_add_f32 v101, v105, v101 :: v_dual_add_f32 v100, v102, v100
	s_delay_alu instid0(VALU_DEP_3) | instskip(NEXT) | instid1(VALU_DEP_3)
	v_dual_mul_f32 v105, 0xbf7e222b, v183 :: v_dual_add_f32 v116, v223, v116
	v_add_f32_e32 v117, v131, v117
	v_add_f32_e32 v131, v99, v218
	v_fmamk_f32 v218, v119, 0x3e750f2a, v219
	v_add_f32_e32 v223, v227, v224
	v_mul_f32_e32 v227, 0x3eedf032, v186
	v_dual_fmamk_f32 v224, v125, 0xbeb58ec6, v228 :: v_dual_add_f32 v101, v107, v101
	s_delay_alu instid0(VALU_DEP_4) | instskip(SKIP_1) | instid1(VALU_DEP_3)
	v_dual_add_f32 v130, v218, v131 :: v_dual_fmamk_f32 v131, v120, 0xbf6f5d39, v220
	v_mul_f32_e32 v218, 0x3f62ad3f, v136
	v_dual_mul_f32 v136, 0xbeb58ec6, v136 :: v_dual_add_f32 v97, v97, v101
	v_add_f32_e32 v100, v104, v100
	s_delay_alu instid0(VALU_DEP_3) | instskip(SKIP_1) | instid1(VALU_DEP_3)
	v_dual_add_f32 v130, v131, v130 :: v_dual_fmamk_f32 v131, v118, 0xbeedf032, v218
	v_fmamk_f32 v104, v125, 0x3df6dbef, v105
	v_dual_add_f32 v5, v5, v97 :: v_dual_add_f32 v100, v106, v100
	v_fmac_f32_e32 v135, 0xbe750f2a, v122
	s_delay_alu instid0(VALU_DEP_4) | instskip(NEXT) | instid1(VALU_DEP_3)
	v_dual_add_f32 v130, v131, v130 :: v_dual_fmamk_f32 v131, v121, 0x3f52af12, v226
	v_dual_add_f32 v5, v7, v5 :: v_dual_add_f32 v96, v96, v100
	v_fmac_f32_e32 v193, 0x3f7e222b, v119
	v_fmac_f32_e32 v226, 0xbf52af12, v121
	s_delay_alu instid0(VALU_DEP_4) | instskip(NEXT) | instid1(VALU_DEP_4)
	v_dual_add_f32 v130, v131, v130 :: v_dual_add_f32 v131, v224, v223
	v_dual_fmamk_f32 v223, v127, 0x3f62ad3f, v227 :: v_dual_add_f32 v4, v4, v96
	v_mul_f32_e32 v107, 0xbf6f5d39, v186
	v_add_f32_e32 v5, v1, v5
	v_fmac_f32_e32 v179, 0x3f52af12, v118
	s_delay_alu instid0(VALU_DEP_4)
	v_dual_add_f32 v223, v223, v131 :: v_dual_add_f32 v4, v6, v4
	v_add_f32_e32 v131, v231, v130
	v_add_f32_e32 v130, v99, v232
	v_fmamk_f32 v231, v119, 0x3f6f5d39, v233
	v_mul_f32_e32 v232, 0xbf788fa5, v134
	v_dual_mul_f32 v134, 0x3df6dbef, v134 :: v_dual_add_f32 v3, v3, v5
	v_add_f32_e32 v4, v0, v4
	s_delay_alu instid0(VALU_DEP_3) | instskip(SKIP_1) | instid1(VALU_DEP_3)
	v_dual_add_f32 v130, v231, v130 :: v_dual_fmamk_f32 v231, v120, 0x3e750f2a, v232
	v_fma_f32 v5, 0xbf788fa5, v123, -v180
	v_dual_add_f32 v3, v168, v3 :: v_dual_add_f32 v2, v2, v4
	v_fmac_f32_e32 v184, 0xbf6f5d39, v121
	s_delay_alu instid0(VALU_DEP_4) | instskip(NEXT) | instid1(VALU_DEP_3)
	v_dual_add_f32 v130, v231, v130 :: v_dual_fmamk_f32 v231, v118, 0xbf29c268, v236
	v_dual_add_f32 v5, v98, v5 :: v_dual_add_f32 v2, v167, v2
	v_fmac_f32_e32 v236, 0x3f29c268, v118
	v_fmac_f32_e32 v216, 0xbf7e222b, v122
	s_delay_alu instid0(VALU_DEP_4) | instskip(SKIP_3) | instid1(VALU_DEP_4)
	v_dual_add_f32 v231, v231, v130 :: v_dual_fmac_f32 v206, 0x3f29c268, v119
	v_fmac_f32_e32 v198, 0x3e750f2a, v118
	v_fmac_f32_e32 v189, 0x3f7e222b, v126
	;; [unrolled: 1-line block ×3, first 2 shown]
	v_add_f32_e32 v231, v243, v231
	v_mul_f32_e32 v243, 0x3f62ad3f, v132
	v_fmac_f32_e32 v207, 0x3eedf032, v120
	v_fmac_f32_e32 v215, 0x3f52af12, v126
	;; [unrolled: 1-line block ×4, first 2 shown]
	v_fmamk_f32 v245, v122, 0x3eedf032, v243
	v_mul_f32_e32 v224, 0xbf52af12, v190
	v_fmac_f32_e32 v233, 0xbf6f5d39, v119
	v_fmac_f32_e32 v229, 0xbf29c268, v126
	s_delay_alu instid0(VALU_DEP_3) | instskip(NEXT) | instid1(VALU_DEP_1)
	v_fmamk_f32 v234, v128, 0x3f116cb1, v224
	v_dual_add_f32 v223, v234, v223 :: v_dual_mul_f32 v234, 0xbf29c268, v194
	s_delay_alu instid0(VALU_DEP_1) | instskip(NEXT) | instid1(VALU_DEP_1)
	v_fmamk_f32 v237, v129, 0xbf3f9e67, v234
	v_add_f32_e32 v130, v237, v223
	v_add_f32_e32 v223, v241, v238
	v_mul_f32_e32 v241, 0x3f62ad3f, v187
	v_mul_f32_e32 v238, 0x3f29c268, v186
	v_fmamk_f32 v237, v125, 0xbf788fa5, v242
	s_delay_alu instid0(VALU_DEP_3) | instskip(NEXT) | instid1(VALU_DEP_2)
	v_fmamk_f32 v244, v126, 0xbeedf032, v241
	v_dual_fmac_f32 v241, 0x3eedf032, v126 :: v_dual_add_f32 v132, v237, v223
	s_delay_alu instid0(VALU_DEP_4) | instskip(SKIP_1) | instid1(VALU_DEP_4)
	v_fmamk_f32 v223, v127, 0xbf3f9e67, v238
	v_mul_f32_e32 v237, 0x3f7e222b, v190
	v_dual_add_f32 v133, v244, v231 :: v_dual_fmamk_f32 v244, v119, 0x3f52af12, v246
	v_add_f32_e32 v231, v99, v245
	s_delay_alu instid0(VALU_DEP_1) | instskip(SKIP_4) | instid1(VALU_DEP_4)
	v_dual_add_f32 v132, v223, v132 :: v_dual_add_f32 v231, v244, v231
	v_fmamk_f32 v244, v120, 0x3f7e222b, v134
	v_fmamk_f32 v223, v128, 0x3df6dbef, v237
	v_fmac_f32_e32 v134, 0xbf7e222b, v120
	v_fmac_f32_e32 v220, 0x3f6f5d39, v120
	v_dual_fmac_f32 v210, 0xbf7e222b, v118 :: v_dual_add_f32 v111, v244, v231
	s_delay_alu instid0(VALU_DEP_4) | instskip(SKIP_3) | instid1(VALU_DEP_3)
	v_dual_add_f32 v132, v223, v132 :: v_dual_mul_f32 v223, 0x3eedf032, v194
	v_fmamk_f32 v231, v118, 0x3f6f5d39, v136
	v_fmac_f32_e32 v136, 0xbf6f5d39, v118
	v_fmac_f32_e32 v218, 0x3eedf032, v118
	v_dual_fmamk_f32 v245, v129, 0x3f62ad3f, v223 :: v_dual_add_f32 v110, v231, v111
	v_fmamk_f32 v111, v123, 0x3f62ad3f, v177
	v_fmac_f32_e32 v243, 0xbeedf032, v122
	v_fmac_f32_e32 v212, 0x3e750f2a, v121
	s_delay_alu instid0(VALU_DEP_4)
	v_add_f32_e32 v132, v245, v132
	v_add_f32_e32 v101, v113, v110
	;; [unrolled: 1-line block ×3, first 2 shown]
	v_dual_mul_f32 v103, 0xbf52af12, v181 :: v_dual_fmac_f32 v246, 0xbf52af12, v119
	v_fmac_f32_e32 v230, 0xbf52af12, v122
	v_fmac_f32_e32 v240, 0x3f7e222b, v121
	s_delay_alu instid0(VALU_DEP_2) | instskip(NEXT) | instid1(VALU_DEP_1)
	v_dual_fmamk_f32 v102, v124, 0x3f116cb1, v103 :: v_dual_add_f32 v113, v99, v230
	v_add_f32_e32 v102, v102, v111
	v_fma_f32 v111, 0x3f116cb1, v129, -v221
	s_delay_alu instid0(VALU_DEP_3) | instskip(SKIP_1) | instid1(VALU_DEP_4)
	v_add_f32_e32 v113, v233, v113
	v_fma_f32 v103, 0x3f116cb1, v124, -v103
	v_add_f32_e32 v102, v104, v102
	v_fmamk_f32 v104, v127, 0xbeb58ec6, v107
	s_delay_alu instid0(VALU_DEP_1) | instskip(SKIP_4) | instid1(VALU_DEP_3)
	v_add_f32_e32 v97, v104, v102
	v_mul_f32_e32 v102, 0xbe750f2a, v194
	v_mul_f32_e32 v110, 0xbf788fa5, v187
	v_fma_f32 v104, 0xbf788fa5, v128, -v217
	v_fmac_f32_e32 v112, 0xbf29c268, v121
	v_fmamk_f32 v96, v126, 0x3e750f2a, v110
	s_delay_alu instid0(VALU_DEP_1) | instskip(NEXT) | instid1(VALU_DEP_1)
	v_dual_mul_f32 v106, 0xbf29c268, v190 :: v_dual_add_f32 v1, v96, v101
	v_fmamk_f32 v7, v128, 0xbf3f9e67, v106
	v_fma_f32 v96, 0x3df6dbef, v129, -v196
	v_fma_f32 v101, 0xbf3f9e67, v124, -v211
	s_delay_alu instid0(VALU_DEP_3)
	v_dual_add_f32 v6, v7, v97 :: v_dual_fmamk_f32 v7, v129, 0xbf788fa5, v102
	v_fma_f32 v97, 0xbf3f9e67, v123, -v197
	v_fmac_f32_e32 v110, 0xbe750f2a, v126
	v_fmac_f32_e32 v232, 0xbe750f2a, v120
	v_fma_f32 v102, 0xbf788fa5, v129, -v102
	v_add_f32_e32 v0, v7, v6
	v_fma_f32 v6, 0x3f62ad3f, v124, -v182
	s_delay_alu instid0(VALU_DEP_4) | instskip(SKIP_1) | instid1(VALU_DEP_3)
	v_dual_add_f32 v4, v99, v135 :: v_dual_add_f32 v113, v232, v113
	v_fma_f32 v135, 0xbf3f9e67, v129, -v234
	v_add_f32_e32 v5, v6, v5
	v_fma_f32 v6, 0xbf3f9e67, v125, -v185
	v_fmac_f32_e32 v192, 0xbf29c268, v122
	v_dual_add_f32 v4, v137, v4 :: v_dual_add_f32 v113, v236, v113
	v_fma_f32 v122, 0xbeb58ec6, v124, -v239
	s_delay_alu instid0(VALU_DEP_4) | instskip(SKIP_2) | instid1(VALU_DEP_2)
	v_add_f32_e32 v5, v6, v5
	v_fma_f32 v6, 0x3f116cb1, v127, -v188
	v_add_f32_e32 v7, v99, v192
	v_dual_fmac_f32 v170, 0xbf29c268, v120 :: v_dual_add_f32 v5, v6, v5
	v_fma_f32 v6, 0xbeb58ec6, v128, -v191
	s_delay_alu instid0(VALU_DEP_3) | instskip(NEXT) | instid1(VALU_DEP_2)
	v_add_f32_e32 v7, v193, v7
	v_dual_fmac_f32 v195, 0xbf52af12, v120 :: v_dual_add_f32 v6, v6, v5
	s_delay_alu instid0(VALU_DEP_1) | instskip(NEXT) | instid1(VALU_DEP_1)
	v_dual_add_f32 v4, v170, v4 :: v_dual_add_f32 v7, v195, v7
	v_dual_add_f32 v4, v179, v4 :: v_dual_add_f32 v7, v198, v7
	s_delay_alu instid0(VALU_DEP_1) | instskip(NEXT) | instid1(VALU_DEP_1)
	v_add_f32_e32 v4, v184, v4
	v_dual_fmac_f32 v200, 0x3eedf032, v121 :: v_dual_add_f32 v5, v189, v4
	v_add_f32_e32 v4, v96, v6
	s_delay_alu instid0(VALU_DEP_2) | instskip(SKIP_2) | instid1(VALU_DEP_3)
	v_add_f32_e32 v6, v200, v7
	v_add_f32_e32 v96, v98, v97
	v_fma_f32 v97, 0x3df6dbef, v124, -v199
	v_add_f32_e32 v7, v203, v6
	v_fma_f32 v6, 0xbeb58ec6, v123, -v209
	s_delay_alu instid0(VALU_DEP_3) | instskip(SKIP_1) | instid1(VALU_DEP_3)
	v_add_f32_e32 v96, v97, v96
	v_fma_f32 v97, 0x3f116cb1, v125, -v201
	v_add_f32_e32 v6, v98, v6
	s_delay_alu instid0(VALU_DEP_2) | instskip(SKIP_1) | instid1(VALU_DEP_3)
	v_add_f32_e32 v96, v97, v96
	v_fma_f32 v97, 0xbf788fa5, v127, -v202
	v_add_f32_e32 v6, v101, v6
	v_fma_f32 v101, 0x3f62ad3f, v125, -v214
	s_delay_alu instid0(VALU_DEP_3) | instskip(SKIP_1) | instid1(VALU_DEP_3)
	v_add_f32_e32 v96, v97, v96
	v_fma_f32 v97, 0x3f62ad3f, v128, -v205
	v_add_f32_e32 v6, v101, v6
	v_fma_f32 v101, 0x3df6dbef, v127, -v213
	v_add_f32_e32 v100, v99, v204
	s_delay_alu instid0(VALU_DEP_4) | instskip(SKIP_1) | instid1(VALU_DEP_3)
	v_add_f32_e32 v96, v97, v96
	v_fma_f32 v97, 0xbeb58ec6, v129, -v208
	v_dual_add_f32 v101, v101, v6 :: v_dual_add_f32 v100, v206, v100
	s_delay_alu instid0(VALU_DEP_2) | instskip(SKIP_1) | instid1(VALU_DEP_3)
	v_add_f32_e32 v6, v97, v96
	v_fma_f32 v96, 0x3df6dbef, v123, -v222
	v_add_f32_e32 v100, v207, v100
	s_delay_alu instid0(VALU_DEP_2) | instskip(NEXT) | instid1(VALU_DEP_2)
	v_add_f32_e32 v96, v98, v96
	v_add_f32_e32 v100, v210, v100
	s_delay_alu instid0(VALU_DEP_1) | instskip(NEXT) | instid1(VALU_DEP_1)
	v_add_f32_e32 v100, v212, v100
	v_dual_add_f32 v97, v215, v100 :: v_dual_add_f32 v100, v104, v101
	v_fma_f32 v104, 0xbf788fa5, v124, -v225
	v_add_f32_e32 v101, v99, v216
	s_delay_alu instid0(VALU_DEP_2) | instskip(SKIP_1) | instid1(VALU_DEP_3)
	v_dual_add_f32 v99, v99, v243 :: v_dual_add_f32 v96, v104, v96
	v_fma_f32 v104, 0xbeb58ec6, v125, -v228
	v_add_f32_e32 v101, v219, v101
	s_delay_alu instid0(VALU_DEP_2) | instskip(SKIP_1) | instid1(VALU_DEP_2)
	v_dual_add_f32 v99, v246, v99 :: v_dual_add_f32 v96, v104, v96
	v_fma_f32 v104, 0x3f62ad3f, v127, -v227
	v_add_f32_e32 v99, v134, v99
	s_delay_alu instid0(VALU_DEP_4) | instskip(NEXT) | instid1(VALU_DEP_3)
	v_add_f32_e32 v101, v220, v101
	v_add_f32_e32 v96, v104, v96
	v_fma_f32 v104, 0x3f116cb1, v128, -v224
	s_delay_alu instid0(VALU_DEP_4) | instskip(NEXT) | instid1(VALU_DEP_2)
	v_add_f32_e32 v99, v136, v99
	v_dual_add_f32 v101, v218, v101 :: v_dual_add_f32 v104, v104, v96
	v_dual_add_f32 v96, v111, v100 :: v_dual_add_f32 v111, v240, v113
	v_fma_f32 v113, 0x3f62ad3f, v123, -v177
	s_delay_alu instid0(VALU_DEP_3) | instskip(SKIP_1) | instid1(VALU_DEP_1)
	v_dual_add_f32 v101, v226, v101 :: v_dual_add_f32 v100, v135, v104
	v_fma_f32 v104, 0x3f116cb1, v123, -v235
	v_dual_add_f32 v101, v229, v101 :: v_dual_add_f32 v104, v98, v104
	s_delay_alu instid0(VALU_DEP_4) | instskip(SKIP_1) | instid1(VALU_DEP_3)
	v_add_f32_e32 v98, v98, v113
	v_fma_f32 v113, 0xbf788fa5, v125, -v242
	v_add_f32_e32 v104, v122, v104
	s_delay_alu instid0(VALU_DEP_3) | instskip(SKIP_2) | instid1(VALU_DEP_4)
	v_add_f32_e32 v98, v103, v98
	v_fma_f32 v103, 0x3df6dbef, v125, -v105
	v_fma_f32 v105, 0xbf3f9e67, v127, -v238
	v_add_f32_e32 v104, v113, v104
	s_delay_alu instid0(VALU_DEP_3) | instskip(SKIP_1) | instid1(VALU_DEP_3)
	v_add_f32_e32 v98, v103, v98
	v_fma_f32 v103, 0xbeb58ec6, v127, -v107
	v_add_f32_e32 v104, v105, v104
	v_fma_f32 v105, 0x3df6dbef, v128, -v237
	s_delay_alu instid0(VALU_DEP_3)
	v_add_f32_e32 v98, v103, v98
	v_fma_f32 v103, 0xbf3f9e67, v128, -v106
	v_add_f32_e32 v106, v112, v99
	v_add_f32_e32 v99, v241, v111
	v_add_f32_e32 v104, v105, v104
	v_fma_f32 v105, 0x3f62ad3f, v129, -v223
	v_dual_add_f32 v107, v103, v98 :: v_dual_lshlrev_b32 v112, 3, v173
	s_delay_alu instid0(VALU_DEP_2) | instskip(NEXT) | instid1(VALU_DEP_2)
	v_dual_add_f32 v103, v110, v106 :: v_dual_add_f32 v98, v105, v104
	v_add_f32_e32 v102, v102, v107
	ds_store_2addr_b64 v112, v[2:3], v[0:1] offset1:1
	ds_store_2addr_b64 v112, v[132:133], v[130:131] offset0:2 offset1:3
	ds_store_2addr_b64 v112, v[116:117], v[114:115] offset0:4 offset1:5
	;; [unrolled: 1-line block ×5, first 2 shown]
	ds_store_b64 v112, v[102:103] offset:96
.LBB0_13:
	s_wait_alu 0xfffe
	s_or_b32 exec_lo, exec_lo, s0
	v_add_nc_u32_e32 v7, 0x400, v171
	v_add_nc_u32_e32 v4, 0x1000, v171
	;; [unrolled: 1-line block ×3, first 2 shown]
	global_wb scope:SCOPE_SE
	s_wait_dscnt 0x0
	s_barrier_signal -1
	s_barrier_wait -1
	global_inv scope:SCOPE_SE
	ds_load_2addr_b64 v[97:100], v7 offset0:54 offset1:145
	ds_load_2addr_b64 v[101:104], v4 offset0:34 offset1:125
	;; [unrolled: 1-line block ×3, first 2 shown]
	ds_load_2addr_b64 v[109:112], v171 offset1:91
	v_add_nc_u32_e32 v6, 0x2000, v171
	v_add_nc_u32_e32 v1, 0x2400, v171
	;; [unrolled: 1-line block ×4, first 2 shown]
	s_mov_b32 s2, 0xa36ec936
	s_mov_b32 s3, 0x3f4125a4
	s_wait_dscnt 0x3
	v_mul_f32_e32 v137, v33, v100
	s_wait_dscnt 0x2
	v_mul_f32_e32 v169, v35, v102
	ds_load_2addr_b64 v[113:116], v6 offset0:68 offset1:159
	s_wait_dscnt 0x2
	v_mul_f32_e32 v170, v25, v108
	v_mul_f32_e32 v25, v25, v107
	v_dual_fmac_f32 v169, v34, v101 :: v_dual_add_nc_u32 v96, 0x1800, v171
	v_dual_mul_f32 v35, v35, v101 :: v_dual_add_nc_u32 v0, 0x2c00, v171
	s_delay_alu instid0(VALU_DEP_4) | instskip(NEXT) | instid1(VALU_DEP_4)
	v_fmac_f32_e32 v170, v24, v107
	v_fma_f32 v24, v24, v108, -v25
	v_mul_f32_e32 v101, v19, v106
	s_wait_dscnt 0x0
	v_mul_f32_e32 v25, v27, v114
	ds_load_2addr_b64 v[117:120], v1 offset0:122 offset1:213
	ds_load_b64 v[167:168], v171 offset:14560
	ds_load_2addr_b64 v[121:124], v2 offset0:102 offset1:193
	ds_load_2addr_b64 v[125:128], v5 offset0:108 offset1:199
	;; [unrolled: 1-line block ×4, first 2 shown]
	v_mul_f32_e32 v33, v33, v99
	v_fmac_f32_e32 v137, v32, v99
	v_mul_f32_e32 v27, v27, v113
	v_fmac_f32_e32 v25, v26, v113
	global_wb scope:SCOPE_SE
	s_wait_dscnt 0x0
	v_fma_f32 v32, v32, v100, -v33
	v_fma_f32 v33, v34, v102, -v35
	;; [unrolled: 1-line block ×3, first 2 shown]
	s_barrier_signal -1
	s_barrier_wait -1
	global_inv scope:SCOPE_SE
	v_mul_f32_e32 v34, v41, v120
	v_mul_f32_e32 v35, v41, v119
	;; [unrolled: 1-line block ×5, first 2 shown]
	v_fmac_f32_e32 v34, v40, v119
	v_fma_f32 v27, v40, v120, -v35
	v_dual_fmac_f32 v41, v42, v121 :: v_dual_mul_f32 v102, v13, v132
	v_dual_mul_f32 v35, v43, v121 :: v_dual_mul_f32 v40, v37, v126
	v_mul_f32_e32 v37, v37, v125
	v_mul_f32_e32 v43, v39, v104
	;; [unrolled: 1-line block ×3, first 2 shown]
	v_fmac_f32_e32 v99, v16, v127
	v_fma_f32 v100, v16, v128, -v17
	v_mul_f32_e32 v16, v19, v105
	v_dual_fmac_f32 v40, v36, v125 :: v_dual_mul_f32 v13, v13, v131
	v_fmac_f32_e32 v102, v12, v131
	v_fma_f32 v36, v36, v126, -v37
	v_fma_f32 v37, v38, v104, -v39
	;; [unrolled: 1-line block ×3, first 2 shown]
	v_mul_f32_e32 v106, v9, v136
	v_mul_f32_e32 v107, v11, v168
	;; [unrolled: 1-line block ×3, first 2 shown]
	v_sub_f32_e32 v19, v26, v24
	v_fmac_f32_e32 v101, v18, v105
	v_fma_f32 v105, v12, v132, -v13
	v_mul_f32_e32 v12, v15, v117
	v_fmac_f32_e32 v106, v8, v135
	v_dual_fmac_f32 v43, v38, v103 :: v_dual_mul_f32 v38, v29, v130
	v_mul_f32_e32 v39, v31, v116
	v_mul_f32_e32 v31, v31, v115
	v_fmac_f32_e32 v107, v10, v167
	v_fma_f32 v114, v10, v168, -v11
	v_sub_f32_e32 v10, v137, v41
	v_mul_f32_e32 v9, v9, v135
	v_fma_f32 v108, v14, v118, -v12
	v_add_f32_e32 v12, v169, v34
	v_fmac_f32_e32 v38, v28, v129
	v_add_f32_e32 v17, v24, v26
	v_fma_f32 v113, v8, v136, -v9
	v_add_f32_e32 v8, v137, v41
	v_mul_f32_e32 v29, v29, v129
	v_fmac_f32_e32 v39, v30, v115
	v_add_f32_e32 v13, v33, v27
	s_delay_alu instid0(VALU_DEP_3) | instskip(SKIP_3) | instid1(VALU_DEP_2)
	v_fma_f32 v28, v28, v130, -v29
	v_fma_f32 v29, v30, v116, -v31
	v_mul_f32_e32 v30, v23, v124
	v_mul_f32_e32 v23, v23, v123
	v_fmac_f32_e32 v30, v22, v123
	v_fma_f32 v35, v42, v122, -v35
	v_mul_f32_e32 v42, v21, v134
	v_add_f32_e32 v16, v170, v25
	v_mul_f32_e32 v21, v21, v133
	v_sub_f32_e32 v18, v25, v170
	s_delay_alu instid0(VALU_DEP_4) | instskip(NEXT) | instid1(VALU_DEP_4)
	v_fmac_f32_e32 v42, v20, v133
	v_sub_f32_e32 v25, v8, v16
	v_add_f32_e32 v9, v32, v35
	v_mul_f32_e32 v103, v15, v118
	v_fma_f32 v31, v20, v134, -v21
	v_add_f32_e32 v20, v12, v8
	s_delay_alu instid0(VALU_DEP_4) | instskip(NEXT) | instid1(VALU_DEP_4)
	v_sub_f32_e32 v26, v9, v17
	v_dual_fmac_f32 v103, v14, v117 :: v_dual_sub_f32 v14, v169, v34
	v_fma_f32 v22, v22, v124, -v23
	v_sub_f32_e32 v23, v12, v8
	v_sub_f32_e32 v12, v16, v12
	v_add_f32_e32 v16, v16, v20
	v_dual_add_f32 v8, v18, v14 :: v_dual_sub_f32 v15, v33, v27
	v_sub_f32_e32 v27, v18, v14
	v_sub_f32_e32 v18, v10, v18
	v_sub_f32_e32 v14, v14, v10
	s_delay_alu instid0(VALU_DEP_4) | instskip(SKIP_4) | instid1(VALU_DEP_4)
	v_add_f32_e32 v10, v8, v10
	v_add_f32_e32 v8, v109, v16
	v_mul_f32_e32 v20, 0x3f4a47b2, v25
	v_add_f32_e32 v21, v13, v9
	v_dual_sub_f32 v24, v13, v9 :: v_dual_mul_f32 v25, 0x3d64c772, v12
	v_fmamk_f32 v16, v16, 0xbf955555, v8
	s_delay_alu instid0(VALU_DEP_4)
	v_dual_fmamk_f32 v12, v12, 0x3d64c772, v20 :: v_dual_sub_f32 v13, v17, v13
	v_sub_f32_e32 v11, v32, v35
	v_sub_f32_e32 v32, v19, v15
	v_add_f32_e32 v9, v19, v15
	v_add_f32_e32 v17, v17, v21
	v_mul_f32_e32 v21, 0x3f4a47b2, v26
	v_dual_mul_f32 v26, 0x3d64c772, v13 :: v_dual_sub_f32 v19, v11, v19
	v_dual_sub_f32 v15, v15, v11 :: v_dual_mul_f32 v32, 0x3f08b237, v32
	v_add_f32_e32 v11, v9, v11
	s_delay_alu instid0(VALU_DEP_4) | instskip(NEXT) | instid1(VALU_DEP_4)
	v_fmamk_f32 v13, v13, 0x3d64c772, v21
	v_fma_f32 v26, 0x3f3bfb3b, v24, -v26
	v_fma_f32 v21, 0xbf3bfb3b, v24, -v21
	v_fmamk_f32 v24, v19, 0xbeae86e6, v32
	v_fma_f32 v32, 0xbf5ff5aa, v15, -v32
	v_dual_mul_f32 v33, 0xbf5ff5aa, v14 :: v_dual_mul_f32 v34, 0xbf5ff5aa, v15
	s_delay_alu instid0(VALU_DEP_3) | instskip(SKIP_1) | instid1(VALU_DEP_4)
	v_fmac_f32_e32 v24, 0xbee1c552, v11
	v_fma_f32 v25, 0x3f3bfb3b, v23, -v25
	v_fmac_f32_e32 v32, 0xbee1c552, v11
	v_mul_f32_e32 v27, 0x3f08b237, v27
	v_fma_f32 v20, 0xbf3bfb3b, v23, -v20
	v_fma_f32 v33, 0x3eae86e6, v18, -v33
	s_delay_alu instid0(VALU_DEP_3)
	v_fmamk_f32 v23, v18, 0xbeae86e6, v27
	v_fma_f32 v18, 0x3eae86e6, v19, -v34
	v_add_f32_e32 v19, v25, v16
	v_fma_f32 v27, 0xbf5ff5aa, v14, -v27
	v_add_f32_e32 v20, v20, v16
	v_dual_add_f32 v34, v12, v16 :: v_dual_fmac_f32 v33, 0xbee1c552, v10
	s_delay_alu instid0(VALU_DEP_4) | instskip(SKIP_3) | instid1(VALU_DEP_3)
	v_sub_f32_e32 v14, v19, v32
	v_fmac_f32_e32 v18, 0xbee1c552, v11
	v_dual_add_f32 v16, v32, v19 :: v_dual_fmac_f32 v27, 0xbee1c552, v10
	v_add_f32_e32 v32, v38, v39
	v_add_f32_e32 v12, v18, v20
	v_dual_add_f32 v9, v110, v17 :: v_dual_sub_f32 v18, v20, v18
	s_delay_alu instid0(VALU_DEP_1) | instskip(NEXT) | instid1(VALU_DEP_1)
	v_dual_sub_f32 v20, v34, v24 :: v_dual_fmamk_f32 v17, v17, 0xbf955555, v9
	v_dual_add_f32 v25, v26, v17 :: v_dual_add_f32 v26, v43, v42
	v_add_f32_e32 v21, v21, v17
	v_add_f32_e32 v35, v13, v17
	s_delay_alu instid0(VALU_DEP_2)
	v_sub_f32_e32 v13, v21, v33
	v_add_f32_e32 v19, v33, v21
	v_dual_add_f32 v33, v28, v29 :: v_dual_sub_f32 v28, v29, v28
	v_fmac_f32_e32 v23, 0xbee1c552, v10
	v_dual_add_f32 v10, v24, v34 :: v_dual_sub_f32 v17, v25, v27
	v_add_f32_e32 v24, v36, v22
	v_sub_f32_e32 v22, v36, v22
	v_sub_f32_e32 v34, v39, v38
	v_add_f32_e32 v15, v27, v25
	v_add_f32_e32 v27, v37, v31
	v_sub_f32_e32 v31, v37, v31
	s_delay_alu instid0(VALU_DEP_1)
	v_add_f32_e32 v39, v28, v31
	v_dual_sub_f32 v41, v28, v31 :: v_dual_sub_f32 v28, v22, v28
	v_sub_f32_e32 v11, v35, v23
	v_add_f32_e32 v21, v23, v35
	v_add_f32_e32 v35, v27, v24
	;; [unrolled: 1-line block ×3, first 2 shown]
	v_mul_f32_e32 v41, 0x3f08b237, v41
	s_delay_alu instid0(VALU_DEP_2) | instskip(SKIP_2) | instid1(VALU_DEP_3)
	v_dual_add_f32 v29, v26, v23 :: v_dual_sub_f32 v38, v23, v32
	v_sub_f32_e32 v36, v26, v23
	v_sub_f32_e32 v26, v32, v26
	v_dual_add_f32 v29, v32, v29 :: v_dual_add_f32 v32, v33, v35
	s_delay_alu instid0(VALU_DEP_4) | instskip(SKIP_3) | instid1(VALU_DEP_4)
	v_mul_f32_e32 v35, 0x3f4a47b2, v38
	v_sub_f32_e32 v25, v40, v30
	v_sub_f32_e32 v30, v43, v42
	v_mul_f32_e32 v38, 0x3d64c772, v26
	v_fmamk_f32 v26, v26, 0x3d64c772, v35
	v_fma_f32 v35, 0xbf3bfb3b, v36, -v35
	s_delay_alu instid0(VALU_DEP_4) | instskip(SKIP_4) | instid1(VALU_DEP_4)
	v_sub_f32_e32 v40, v34, v30
	v_add_f32_e32 v23, v34, v30
	v_sub_f32_e32 v34, v25, v34
	v_sub_f32_e32 v30, v30, v25
	v_fma_f32 v38, 0x3f3bfb3b, v36, -v38
	v_dual_mul_f32 v40, 0x3f08b237, v40 :: v_dual_add_f32 v25, v23, v25
	s_delay_alu instid0(VALU_DEP_3) | instskip(NEXT) | instid1(VALU_DEP_2)
	v_dual_add_f32 v23, v112, v32 :: v_dual_mul_f32 v42, 0xbf5ff5aa, v30
	v_dual_fmamk_f32 v36, v34, 0xbeae86e6, v40 :: v_dual_sub_f32 v37, v27, v24
	v_sub_f32_e32 v24, v24, v33
	v_fma_f32 v40, 0xbf5ff5aa, v30, -v40
	v_sub_f32_e32 v27, v33, v27
	s_delay_alu instid0(VALU_DEP_4) | instskip(NEXT) | instid1(VALU_DEP_4)
	v_dual_add_f32 v33, v39, v22 :: v_dual_fmac_f32 v36, 0xbee1c552, v25
	v_mul_f32_e32 v24, 0x3f4a47b2, v24
	s_delay_alu instid0(VALU_DEP_4) | instskip(NEXT) | instid1(VALU_DEP_4)
	v_fmac_f32_e32 v40, 0xbee1c552, v25
	v_mul_f32_e32 v39, 0x3d64c772, v27
	v_fmamk_f32 v32, v32, 0xbf955555, v23
	v_fma_f32 v34, 0x3eae86e6, v34, -v42
	v_fmamk_f32 v27, v27, 0x3d64c772, v24
	v_fma_f32 v24, 0xbf3bfb3b, v37, -v24
	v_fma_f32 v39, 0x3f3bfb3b, v37, -v39
	v_fmamk_f32 v37, v28, 0xbeae86e6, v41
	s_delay_alu instid0(VALU_DEP_1) | instskip(SKIP_2) | instid1(VALU_DEP_2)
	v_fmac_f32_e32 v37, 0xbee1c552, v33
	v_sub_f32_e32 v31, v31, v22
	v_add_f32_e32 v22, v111, v29
	v_fma_f32 v30, 0xbf5ff5aa, v31, -v41
	s_delay_alu instid0(VALU_DEP_2) | instskip(SKIP_1) | instid1(VALU_DEP_3)
	v_fmamk_f32 v29, v29, 0xbf955555, v22
	v_mul_f32_e32 v43, 0xbf5ff5aa, v31
	v_fmac_f32_e32 v30, 0xbee1c552, v33
	s_delay_alu instid0(VALU_DEP_3) | instskip(NEXT) | instid1(VALU_DEP_3)
	v_add_f32_e32 v31, v38, v29
	v_fma_f32 v41, 0x3eae86e6, v28, -v43
	v_add_f32_e32 v42, v26, v29
	v_add_f32_e32 v38, v39, v32
	s_delay_alu instid0(VALU_DEP_4) | instskip(SKIP_4) | instid1(VALU_DEP_3)
	v_dual_add_f32 v39, v24, v32 :: v_dual_sub_f32 v28, v31, v30
	v_add_f32_e32 v30, v30, v31
	v_dual_fmac_f32 v34, 0xbee1c552, v25 :: v_dual_add_f32 v43, v27, v32
	v_dual_fmac_f32 v41, 0xbee1c552, v33 :: v_dual_add_f32 v24, v37, v42
	v_sub_f32_e32 v31, v38, v40
	v_sub_f32_e32 v27, v39, v34
	v_add_f32_e32 v33, v34, v39
	v_sub_f32_e32 v34, v42, v37
	v_dual_sub_f32 v42, v101, v106 :: v_dual_add_f32 v35, v35, v29
	v_dual_add_f32 v29, v40, v38 :: v_dual_sub_f32 v38, v99, v107
	v_dual_sub_f32 v25, v43, v36 :: v_dual_add_f32 v40, v101, v106
	s_delay_alu instid0(VALU_DEP_3)
	v_add_f32_e32 v26, v41, v35
	v_dual_sub_f32 v32, v35, v41 :: v_dual_add_f32 v35, v36, v43
	v_dual_add_f32 v36, v99, v107 :: v_dual_sub_f32 v43, v104, v113
	v_add_f32_e32 v99, v102, v103
	v_dual_sub_f32 v101, v103, v102 :: v_dual_sub_f32 v102, v108, v105
	v_add_f32_e32 v37, v100, v114
	v_dual_sub_f32 v39, v100, v114 :: v_dual_add_f32 v100, v105, v108
	s_delay_alu instid0(VALU_DEP_3) | instskip(NEXT) | instid1(VALU_DEP_2)
	v_dual_sub_f32 v110, v102, v43 :: v_dual_add_f32 v41, v104, v113
	v_sub_f32_e32 v108, v37, v100
	s_delay_alu instid0(VALU_DEP_2) | instskip(SKIP_3) | instid1(VALU_DEP_3)
	v_add_f32_e32 v104, v41, v37
	v_dual_sub_f32 v106, v41, v37 :: v_dual_add_f32 v37, v102, v43
	v_sub_f32_e32 v102, v39, v102
	v_sub_f32_e32 v43, v43, v39
	v_add_f32_e32 v39, v37, v39
	v_sub_f32_e32 v41, v100, v41
	v_add_f32_e32 v100, v100, v104
	s_delay_alu instid0(VALU_DEP_1) | instskip(SKIP_3) | instid1(VALU_DEP_4)
	v_dual_mul_f32 v104, 0x3d64c772, v41 :: v_dual_add_f32 v37, v98, v100
	v_mul_f32_e32 v98, 0x3f4a47b2, v108
	v_mul_f32_e32 v108, 0x3f08b237, v110
	;; [unrolled: 1-line block ×3, first 2 shown]
	v_fma_f32 v104, 0x3f3bfb3b, v106, -v104
	v_fmamk_f32 v100, v100, 0xbf955555, v37
	v_fmamk_f32 v41, v41, 0x3d64c772, v98
	v_fma_f32 v98, 0xbf3bfb3b, v106, -v98
	v_dual_fmamk_f32 v106, v102, 0xbeae86e6, v108 :: v_dual_add_f32 v103, v40, v36
	v_sub_f32_e32 v107, v36, v99
	v_fma_f32 v108, 0xbf5ff5aa, v43, -v108
	v_fma_f32 v102, 0x3eae86e6, v102, -v110
	v_sub_f32_e32 v105, v40, v36
	v_sub_f32_e32 v40, v99, v40
	v_add_f32_e32 v36, v101, v42
	v_fmac_f32_e32 v106, 0xbee1c552, v39
	v_fmac_f32_e32 v102, 0xbee1c552, v39
	v_add_f32_e32 v99, v99, v103
	v_sub_f32_e32 v109, v101, v42
	v_dual_sub_f32 v42, v42, v38 :: v_dual_mul_f32 v103, 0x3d64c772, v40
	v_dual_fmac_f32 v108, 0xbee1c552, v39 :: v_dual_sub_f32 v101, v38, v101
	v_add_f32_e32 v38, v36, v38
	v_add_f32_e32 v36, v97, v99
	s_delay_alu instid0(VALU_DEP_4) | instskip(SKIP_2) | instid1(VALU_DEP_4)
	v_fma_f32 v103, 0x3f3bfb3b, v105, -v103
	v_add_f32_e32 v110, v41, v100
	v_add_f32_e32 v104, v104, v100
	v_dual_add_f32 v100, v98, v100 :: v_dual_fmamk_f32 v99, v99, 0xbf955555, v36
	v_mul_f32_e32 v97, 0x3f4a47b2, v107
	v_mul_f32_e32 v107, 0x3f08b237, v109
	;; [unrolled: 1-line block ×3, first 2 shown]
	s_delay_alu instid0(VALU_DEP_3) | instskip(SKIP_1) | instid1(VALU_DEP_4)
	v_dual_add_f32 v103, v103, v99 :: v_dual_fmamk_f32 v40, v40, 0x3d64c772, v97
	v_fma_f32 v97, 0xbf3bfb3b, v105, -v97
	v_fmamk_f32 v105, v101, 0xbeae86e6, v107
	v_fma_f32 v107, 0xbf5ff5aa, v42, -v107
	s_delay_alu instid0(VALU_DEP_4)
	v_sub_f32_e32 v42, v103, v108
	v_fma_f32 v101, 0x3eae86e6, v101, -v109
	v_add_f32_e32 v109, v40, v99
	v_add_f32_e32 v99, v97, v99
	v_fmac_f32_e32 v105, 0xbee1c552, v38
	v_fmac_f32_e32 v107, 0xbee1c552, v38
	s_delay_alu instid0(VALU_DEP_4) | instskip(NEXT) | instid1(VALU_DEP_4)
	v_dual_fmac_f32 v101, 0xbee1c552, v38 :: v_dual_add_f32 v38, v106, v109
	v_add_f32_e32 v40, v102, v99
	s_delay_alu instid0(VALU_DEP_4) | instskip(NEXT) | instid1(VALU_DEP_4)
	v_sub_f32_e32 v39, v110, v105
	v_add_f32_e32 v43, v107, v104
	s_delay_alu instid0(VALU_DEP_4)
	v_sub_f32_e32 v41, v100, v101
	v_add_f32_e32 v97, v108, v103
	v_dual_sub_f32 v98, v104, v107 :: v_dual_sub_f32 v99, v99, v102
	v_add_f32_e32 v100, v101, v100
	v_sub_f32_e32 v101, v109, v106
	v_add_f32_e32 v102, v105, v110
	ds_store_2addr_b64 v176, v[8:9], v[10:11] offset1:13
	ds_store_2addr_b64 v176, v[12:13], v[14:15] offset0:26 offset1:39
	ds_store_2addr_b64 v176, v[16:17], v[18:19] offset0:52 offset1:65
	ds_store_b64 v176, v[20:21] offset:624
	ds_store_2addr_b64 v175, v[22:23], v[24:25] offset1:13
	ds_store_2addr_b64 v175, v[26:27], v[28:29] offset0:26 offset1:39
	ds_store_2addr_b64 v175, v[30:31], v[32:33] offset0:52 offset1:65
	ds_store_b64 v175, v[34:35] offset:624
	;; [unrolled: 4-line block ×3, first 2 shown]
	global_wb scope:SCOPE_SE
	s_wait_dscnt 0x0
	s_barrier_signal -1
	s_barrier_wait -1
	global_inv scope:SCOPE_SE
	ds_load_2addr_b64 v[8:11], v7 offset0:54 offset1:145
	ds_load_2addr_b64 v[12:15], v4 offset0:34 offset1:125
	ds_load_2addr_b64 v[16:19], v3 offset0:88 offset1:179
	ds_load_2addr_b64 v[20:23], v6 offset0:68 offset1:159
	ds_load_2addr_b64 v[24:27], v171 offset1:91
	ds_load_2addr_b64 v[28:31], v1 offset0:122 offset1:213
	ds_load_2addr_b64 v[32:35], v2 offset0:102 offset1:193
	;; [unrolled: 1-line block ×5, first 2 shown]
	ds_load_b64 v[101:102], v171 offset:14560
	global_wb scope:SCOPE_SE
	s_wait_dscnt 0x0
	s_barrier_signal -1
	s_barrier_wait -1
	global_inv scope:SCOPE_SE
	v_dual_mul_f32 v103, v65, v11 :: v_dual_mul_f32 v104, v67, v13
	s_delay_alu instid0(VALU_DEP_1) | instskip(SKIP_1) | instid1(VALU_DEP_2)
	v_dual_mul_f32 v106, v61, v19 :: v_dual_fmac_f32 v103, v64, v10
	v_mul_f32_e32 v10, v65, v10
	v_fmac_f32_e32 v106, v60, v18
	s_delay_alu instid0(VALU_DEP_4) | instskip(NEXT) | instid1(VALU_DEP_3)
	v_fmac_f32_e32 v104, v66, v12
	v_fma_f32 v10, v64, v11, -v10
	v_mul_f32_e32 v105, v67, v12
	s_delay_alu instid0(VALU_DEP_1) | instskip(SKIP_1) | instid1(VALU_DEP_1)
	v_fma_f32 v11, v66, v13, -v105
	v_mul_f32_e32 v13, v63, v21
	v_fmac_f32_e32 v13, v62, v20
	v_dual_mul_f32 v107, v61, v18 :: v_dual_mul_f32 v18, v63, v20
	s_delay_alu instid0(VALU_DEP_1) | instskip(SKIP_1) | instid1(VALU_DEP_3)
	v_fma_f32 v12, v60, v19, -v107
	v_mul_f32_e32 v107, v59, v33
	v_fma_f32 v18, v62, v21, -v18
	v_mul_f32_e32 v19, v57, v31
	v_mul_f32_e32 v21, v59, v32
	s_delay_alu instid0(VALU_DEP_4) | instskip(SKIP_1) | instid1(VALU_DEP_4)
	v_fmac_f32_e32 v107, v58, v32
	v_mul_f32_e32 v105, v57, v30
	v_dual_fmac_f32 v19, v56, v30 :: v_dual_mul_f32 v30, v65, v37
	v_mul_f32_e32 v32, v67, v15
	v_fma_f32 v21, v58, v33, -v21
	s_delay_alu instid0(VALU_DEP_4) | instskip(SKIP_4) | instid1(VALU_DEP_4)
	v_fma_f32 v20, v56, v31, -v105
	v_mul_f32_e32 v31, v65, v36
	v_dual_mul_f32 v65, v67, v14 :: v_dual_fmac_f32 v30, v64, v36
	v_fmac_f32_e32 v32, v66, v14
	v_mul_f32_e32 v36, v61, v41
	v_fma_f32 v31, v64, v37, -v31
	s_delay_alu instid0(VALU_DEP_4) | instskip(SKIP_3) | instid1(VALU_DEP_3)
	v_fma_f32 v33, v66, v15, -v65
	v_dual_mul_f32 v14, v61, v40 :: v_dual_mul_f32 v37, v63, v23
	v_mul_f32_e32 v15, v63, v22
	v_dual_mul_f32 v61, v57, v98 :: v_dual_fmac_f32 v36, v60, v40
	v_fma_f32 v40, v60, v41, -v14
	s_delay_alu instid0(VALU_DEP_4) | instskip(NEXT) | instid1(VALU_DEP_4)
	v_fmac_f32_e32 v37, v62, v22
	v_fma_f32 v41, v62, v23, -v15
	v_dual_mul_f32 v14, v57, v97 :: v_dual_mul_f32 v57, v59, v35
	v_mul_f32_e32 v15, v59, v34
	v_mul_f32_e32 v59, v53, v39
	;; [unrolled: 1-line block ×3, first 2 shown]
	s_delay_alu instid0(VALU_DEP_4)
	v_fma_f32 v53, v56, v98, -v14
	v_fmac_f32_e32 v57, v58, v34
	v_fma_f32 v34, v58, v35, -v15
	v_fmac_f32_e32 v59, v52, v38
	v_fma_f32 v38, v52, v39, -v22
	v_mul_f32_e32 v52, v49, v43
	v_mul_f32_e32 v15, v49, v42
	;; [unrolled: 1-line block ×4, first 2 shown]
	v_add_f32_e32 v22, v12, v18
	v_fmac_f32_e32 v52, v48, v42
	v_fma_f32 v42, v48, v43, -v15
	v_mul_f32_e32 v43, v45, v100
	v_mul_f32_e32 v15, v45, v99
	v_fmac_f32_e32 v39, v54, v16
	v_fma_f32 v54, v54, v17, -v14
	s_delay_alu instid0(VALU_DEP_4) | instskip(NEXT) | instid1(VALU_DEP_4)
	v_dual_mul_f32 v14, v51, v28 :: v_dual_fmac_f32 v43, v44, v99
	v_fma_f32 v44, v44, v100, -v15
	v_add_f32_e32 v15, v10, v21
	v_dual_sub_f32 v10, v10, v21 :: v_dual_add_f32 v21, v11, v20
	v_sub_f32_e32 v11, v11, v20
	v_dual_sub_f32 v12, v18, v12 :: v_dual_mul_f32 v49, v51, v29
	v_mul_f32_e32 v45, v47, v102
	v_mul_f32_e32 v16, v47, v101
	v_fma_f32 v47, v50, v29, -v14
	v_add_f32_e32 v17, v104, v19
	v_add_f32_e32 v48, v12, v11
	v_dual_add_f32 v14, v103, v107 :: v_dual_fmac_f32 v49, v50, v28
	v_fmac_f32_e32 v45, v46, v101
	v_fma_f32 v46, v46, v102, -v16
	v_sub_f32_e32 v16, v103, v107
	s_delay_alu instid0(VALU_DEP_4) | instskip(SKIP_3) | instid1(VALU_DEP_3)
	v_sub_f32_e32 v28, v17, v14
	v_dual_add_f32 v20, v106, v13 :: v_dual_sub_f32 v13, v13, v106
	v_add_f32_e32 v18, v17, v14
	v_add_f32_e32 v23, v21, v15
	v_dual_sub_f32 v29, v21, v15 :: v_dual_sub_f32 v14, v14, v20
	v_sub_f32_e32 v19, v104, v19
	v_sub_f32_e32 v15, v15, v22
	;; [unrolled: 1-line block ×5, first 2 shown]
	v_add_f32_e32 v35, v13, v19
	v_dual_sub_f32 v50, v13, v19 :: v_dual_sub_f32 v13, v16, v13
	v_dual_sub_f32 v19, v19, v16 :: v_dual_add_f32 v18, v20, v18
	v_add_f32_e32 v20, v22, v23
	v_sub_f32_e32 v22, v11, v10
	v_dual_add_f32 v16, v35, v16 :: v_dual_fmac_f32 v61, v56, v97
	v_dual_sub_f32 v12, v10, v12 :: v_dual_add_f32 v23, v48, v10
	s_delay_alu instid0(VALU_DEP_4)
	v_dual_add_f32 v10, v24, v18 :: v_dual_add_f32 v11, v25, v20
	v_dual_mul_f32 v14, 0x3f4a47b2, v14 :: v_dual_mul_f32 v15, 0x3f4a47b2, v15
	v_mul_f32_e32 v24, 0x3d64c772, v17
	v_mul_f32_e32 v25, 0x3d64c772, v21
	;; [unrolled: 1-line block ×6, first 2 shown]
	v_fmamk_f32 v18, v18, 0xbf955555, v10
	v_fmamk_f32 v20, v20, 0xbf955555, v11
	v_fmamk_f32 v17, v17, 0x3d64c772, v14
	v_fmamk_f32 v21, v21, 0x3d64c772, v15
	v_fma_f32 v24, 0x3f3bfb3b, v28, -v24
	v_fma_f32 v25, 0x3f3bfb3b, v29, -v25
	;; [unrolled: 1-line block ×4, first 2 shown]
	v_fmamk_f32 v29, v12, 0xbeae86e6, v48
	v_fma_f32 v22, 0xbf5ff5aa, v22, -v48
	v_fma_f32 v48, 0x3eae86e6, v12, -v51
	v_fmamk_f32 v28, v13, 0xbeae86e6, v35
	v_fma_f32 v19, 0xbf5ff5aa, v19, -v35
	v_fma_f32 v35, 0x3eae86e6, v13, -v50
	v_add_f32_e32 v50, v17, v18
	v_add_f32_e32 v51, v21, v20
	v_dual_add_f32 v21, v24, v18 :: v_dual_add_f32 v24, v25, v20
	v_add_f32_e32 v25, v14, v18
	v_fmac_f32_e32 v29, 0xbee1c552, v23
	v_fmac_f32_e32 v48, 0xbee1c552, v23
	v_dual_fmac_f32 v22, 0xbee1c552, v23 :: v_dual_add_f32 v55, v15, v20
	v_fmac_f32_e32 v28, 0xbee1c552, v16
	v_fmac_f32_e32 v19, 0xbee1c552, v16
	v_dual_fmac_f32 v35, 0xbee1c552, v16 :: v_dual_add_f32 v12, v29, v50
	v_add_f32_e32 v14, v48, v25
	v_sub_f32_e32 v16, v21, v22
	v_add_f32_e32 v18, v22, v21
	v_sub_f32_e32 v20, v25, v48
	v_dual_sub_f32 v22, v50, v29 :: v_dual_add_f32 v25, v31, v34
	v_sub_f32_e32 v29, v31, v34
	v_add_f32_e32 v31, v33, v53
	v_sub_f32_e32 v15, v55, v35
	v_add_f32_e32 v21, v35, v55
	;; [unrolled: 2-line block ×3, first 2 shown]
	v_dual_add_f32 v35, v40, v41 :: v_dual_sub_f32 v36, v37, v36
	v_sub_f32_e32 v37, v41, v40
	v_add_f32_e32 v41, v31, v25
	s_delay_alu instid0(VALU_DEP_3) | instskip(SKIP_1) | instid1(VALU_DEP_4)
	v_dual_sub_f32 v50, v31, v25 :: v_dual_sub_f32 v53, v25, v35
	v_sub_f32_e32 v31, v35, v31
	v_add_f32_e32 v25, v37, v33
	v_sub_f32_e32 v56, v37, v33
	v_add_f32_e32 v35, v35, v41
	v_sub_f32_e32 v33, v33, v29
	v_sub_f32_e32 v37, v29, v37
	v_add_f32_e32 v29, v25, v29
	v_mul_f32_e32 v41, 0x3d64c772, v31
	v_add_f32_e32 v25, v27, v35
	v_mul_f32_e32 v27, 0x3f4a47b2, v53
	v_mul_f32_e32 v53, 0x3f08b237, v56
	;; [unrolled: 1-line block ×3, first 2 shown]
	v_fma_f32 v41, 0x3f3bfb3b, v50, -v41
	v_fmamk_f32 v35, v35, 0xbf955555, v25
	v_fmamk_f32 v31, v31, 0x3d64c772, v27
	v_fma_f32 v27, 0xbf3bfb3b, v50, -v27
	v_fmamk_f32 v50, v37, 0xbeae86e6, v53
	v_fma_f32 v37, 0x3eae86e6, v37, -v56
	s_delay_alu instid0(VALU_DEP_2) | instskip(NEXT) | instid1(VALU_DEP_2)
	v_dual_fmac_f32 v50, 0xbee1c552, v29 :: v_dual_sub_f32 v13, v51, v28
	v_fmac_f32_e32 v37, 0xbee1c552, v29
	v_add_f32_e32 v17, v19, v24
	v_sub_f32_e32 v19, v24, v19
	v_dual_add_f32 v23, v28, v51 :: v_dual_add_f32 v24, v30, v57
	v_sub_f32_e32 v28, v30, v57
	v_add_f32_e32 v30, v32, v61
	v_sub_f32_e32 v32, v32, v61
	s_delay_alu instid0(VALU_DEP_2) | instskip(SKIP_2) | instid1(VALU_DEP_4)
	v_dual_sub_f32 v51, v24, v34 :: v_dual_add_f32 v40, v30, v24
	v_sub_f32_e32 v48, v30, v24
	v_sub_f32_e32 v30, v34, v30
	v_add_f32_e32 v24, v36, v32
	v_sub_f32_e32 v55, v36, v32
	v_add_f32_e32 v34, v34, v40
	v_sub_f32_e32 v36, v28, v36
	v_sub_f32_e32 v32, v32, v28
	v_add_f32_e32 v28, v24, v28
	v_mul_f32_e32 v40, 0x3d64c772, v30
	v_add_f32_e32 v24, v26, v34
	v_mul_f32_e32 v26, 0x3f4a47b2, v51
	v_mul_f32_e32 v51, 0x3f08b237, v55
	v_mul_f32_e32 v55, 0xbf5ff5aa, v32
	v_fma_f32 v40, 0x3f3bfb3b, v48, -v40
	v_fmamk_f32 v34, v34, 0xbf955555, v24
	v_fmamk_f32 v30, v30, 0x3d64c772, v26
	v_fma_f32 v26, 0xbf3bfb3b, v48, -v26
	v_fmamk_f32 v48, v36, 0xbeae86e6, v51
	v_fma_f32 v51, 0xbf5ff5aa, v32, -v51
	v_fma_f32 v32, 0xbf5ff5aa, v33, -v53
	;; [unrolled: 1-line block ×3, first 2 shown]
	v_add_f32_e32 v53, v30, v34
	v_add_f32_e32 v55, v31, v35
	v_dual_add_f32 v33, v40, v34 :: v_dual_add_f32 v40, v41, v35
	v_add_f32_e32 v34, v26, v34
	v_fmac_f32_e32 v48, 0xbee1c552, v28
	v_dual_fmac_f32 v51, 0xbee1c552, v28 :: v_dual_fmac_f32 v32, 0xbee1c552, v29
	v_dual_add_f32 v35, v27, v35 :: v_dual_fmac_f32 v36, 0xbee1c552, v28
	s_delay_alu instid0(VALU_DEP_3) | instskip(NEXT) | instid1(VALU_DEP_3)
	v_dual_sub_f32 v27, v55, v48 :: v_dual_add_f32 v28, v37, v34
	v_sub_f32_e32 v30, v33, v32
	s_delay_alu instid0(VALU_DEP_4)
	v_dual_add_f32 v31, v51, v40 :: v_dual_add_f32 v32, v32, v33
	v_dual_sub_f32 v33, v40, v51 :: v_dual_sub_f32 v34, v34, v37
	v_dual_add_f32 v37, v48, v55 :: v_dual_add_f32 v40, v59, v45
	v_add_f32_e32 v41, v38, v46
	v_sub_f32_e32 v38, v38, v46
	v_add_f32_e32 v46, v39, v43
	v_add_f32_e32 v48, v54, v44
	v_dual_add_f32 v26, v50, v53 :: v_dual_sub_f32 v29, v35, v36
	v_dual_add_f32 v35, v36, v35 :: v_dual_sub_f32 v36, v53, v50
	v_sub_f32_e32 v39, v39, v43
	v_dual_sub_f32 v43, v54, v44 :: v_dual_add_f32 v44, v52, v49
	v_dual_add_f32 v50, v42, v47 :: v_dual_sub_f32 v49, v49, v52
	v_dual_sub_f32 v42, v47, v42 :: v_dual_add_f32 v47, v46, v40
	v_add_f32_e32 v51, v48, v41
	v_dual_sub_f32 v45, v59, v45 :: v_dual_sub_f32 v52, v46, v40
	v_sub_f32_e32 v53, v48, v41
	v_dual_sub_f32 v40, v40, v44 :: v_dual_sub_f32 v41, v41, v50
	v_sub_f32_e32 v46, v44, v46
	v_sub_f32_e32 v48, v50, v48
	v_add_f32_e32 v54, v49, v39
	v_add_f32_e32 v55, v42, v43
	v_sub_f32_e32 v56, v49, v39
	v_sub_f32_e32 v57, v42, v43
	v_add_f32_e32 v44, v44, v47
	v_add_f32_e32 v47, v50, v51
	v_sub_f32_e32 v39, v39, v45
	v_sub_f32_e32 v43, v43, v38
	v_dual_sub_f32 v49, v45, v49 :: v_dual_sub_f32 v42, v38, v42
	v_dual_add_f32 v45, v54, v45 :: v_dual_add_f32 v38, v55, v38
	v_dual_add_f32 v8, v8, v44 :: v_dual_add_f32 v9, v9, v47
	v_dual_mul_f32 v40, 0x3f4a47b2, v40 :: v_dual_mul_f32 v41, 0x3f4a47b2, v41
	v_dual_mul_f32 v50, 0x3d64c772, v46 :: v_dual_mul_f32 v51, 0x3d64c772, v48
	;; [unrolled: 1-line block ×3, first 2 shown]
	v_mul_f32_e32 v56, 0xbf5ff5aa, v39
	v_mul_f32_e32 v57, 0xbf5ff5aa, v43
	v_dual_fmamk_f32 v44, v44, 0xbf955555, v8 :: v_dual_fmamk_f32 v47, v47, 0xbf955555, v9
	v_fmamk_f32 v46, v46, 0x3d64c772, v40
	v_fmamk_f32 v48, v48, 0x3d64c772, v41
	v_fma_f32 v50, 0x3f3bfb3b, v52, -v50
	v_fma_f32 v51, 0x3f3bfb3b, v53, -v51
	;; [unrolled: 1-line block ×4, first 2 shown]
	v_dual_fmamk_f32 v52, v49, 0xbeae86e6, v54 :: v_dual_fmamk_f32 v53, v42, 0xbeae86e6, v55
	v_fma_f32 v54, 0xbf5ff5aa, v39, -v54
	v_fma_f32 v55, 0xbf5ff5aa, v43, -v55
	;; [unrolled: 1-line block ×4, first 2 shown]
	v_dual_add_f32 v57, v46, v44 :: v_dual_add_f32 v58, v48, v47
	v_dual_fmac_f32 v52, 0xbee1c552, v45 :: v_dual_fmac_f32 v53, 0xbee1c552, v38
	v_add_f32_e32 v46, v50, v44
	v_add_f32_e32 v48, v51, v47
	v_dual_add_f32 v50, v40, v44 :: v_dual_add_f32 v47, v41, v47
	v_fmac_f32_e32 v54, 0xbee1c552, v45
	v_dual_fmac_f32 v56, 0xbee1c552, v38 :: v_dual_fmac_f32 v49, 0xbee1c552, v45
	v_dual_fmac_f32 v55, 0xbee1c552, v38 :: v_dual_add_f32 v38, v53, v57
	v_sub_f32_e32 v39, v58, v52
	ds_store_2addr_b64 v171, v[10:11], v[12:13] offset1:91
	ds_store_2addr_b64 v7, v[14:15], v[16:17] offset0:54 offset1:145
	ds_store_2addr_b64 v5, v[18:19], v[20:21] offset0:108 offset1:199
	;; [unrolled: 1-line block ×4, first 2 shown]
	v_add_nc_u32_e32 v10, 0x2400, v178
	v_dual_add_f32 v40, v56, v50 :: v_dual_sub_f32 v41, v47, v49
	v_sub_f32_e32 v42, v46, v55
	v_add_f32_e32 v43, v54, v48
	v_add_nc_u32_e32 v11, 0x2c00, v178
	v_add_f32_e32 v44, v55, v46
	v_dual_sub_f32 v45, v48, v54 :: v_dual_sub_f32 v46, v50, v56
	v_dual_add_f32 v47, v49, v47 :: v_dual_add_nc_u32 v12, 0x3000, v178
	v_dual_sub_f32 v48, v57, v53 :: v_dual_add_f32 v49, v52, v58
	ds_store_2addr_b64 v96, v[30:31], v[32:33] offset0:142 offset1:233
	ds_store_2addr_b64 v6, v[34:35], v[36:37] offset0:68 offset1:159
	;; [unrolled: 1-line block ×5, first 2 shown]
	ds_store_b64 v178, v[48:49] offset:14560
	global_wb scope:SCOPE_SE
	s_wait_dscnt 0x0
	s_barrier_signal -1
	s_barrier_wait -1
	global_inv scope:SCOPE_SE
	ds_load_2addr_b64 v[8:11], v4 offset0:34 offset1:125
	ds_load_2addr_b64 v[12:15], v1 offset0:122 offset1:213
	;; [unrolled: 1-line block ×3, first 2 shown]
	ds_load_2addr_b64 v[20:23], v171 offset1:91
	ds_load_2addr_b64 v[24:27], v7 offset0:54 offset1:145
	ds_load_2addr_b64 v[28:31], v0 offset0:48 offset1:139
	ds_load_2addr_b64 v[32:35], v96 offset0:142 offset1:233
	ds_load_2addr_b64 v[36:39], v5 offset0:108 offset1:199
	ds_load_2addr_b64 v[40:43], v2 offset0:102 offset1:193
	ds_load_2addr_b64 v[44:47], v6 offset0:68 offset1:159
	ds_load_b64 v[48:49], v171 offset:14560
	s_wait_dscnt 0xa
	v_mul_f32_e32 v50, v93, v11
	s_wait_dscnt 0x9
	v_dual_mul_f32 v52, v95, v13 :: v_dual_mul_f32 v51, v93, v10
	v_mul_f32_e32 v53, v91, v15
	s_wait_dscnt 0x8
	v_mul_f32_e32 v54, v85, v19
	v_fmac_f32_e32 v50, v92, v10
	v_mul_f32_e32 v10, v95, v12
	v_fmac_f32_e32 v52, v94, v12
	v_mul_f32_e32 v12, v89, v16
	v_fma_f32 v11, v92, v11, -v51
	v_mul_f32_e32 v51, v89, v17
	v_fma_f32 v13, v94, v13, -v10
	;; [unrolled: 2-line block ×3, first 2 shown]
	v_mul_f32_e32 v12, v85, v18
	s_wait_dscnt 0x4
	v_mul_f32_e32 v58, v81, v33
	v_mul_f32_e32 v56, v87, v29
	v_fma_f32 v55, v90, v15, -v10
	v_mul_f32_e32 v10, v87, v28
	v_fma_f32 v57, v84, v19, -v12
	v_mul_f32_e32 v12, v81, v32
	v_dual_fmac_f32 v58, v80, v32 :: v_dual_mul_f32 v59, v83, v31
	s_delay_alu instid0(VALU_DEP_4) | instskip(SKIP_1) | instid1(VALU_DEP_4)
	v_fma_f32 v29, v86, v29, -v10
	v_mul_f32_e32 v10, v83, v30
	v_fma_f32 v32, v80, v33, -v12
	v_mul_f32_e32 v12, v77, v34
	v_mul_f32_e32 v60, v77, v35
	s_wait_dscnt 0x1
	v_mul_f32_e32 v62, v73, v45
	v_fma_f32 v31, v82, v31, -v10
	v_mul_f32_e32 v10, v79, v40
	v_fma_f32 v35, v76, v35, -v12
	v_dual_mul_f32 v12, v73, v44 :: v_dual_mul_f32 v61, v79, v41
	v_fmac_f32_e32 v62, v72, v44
	s_delay_alu instid0(VALU_DEP_4) | instskip(SKIP_1) | instid1(VALU_DEP_4)
	v_fma_f32 v41, v78, v41, -v10
	v_mul_f32_e32 v10, v75, v42
	v_fma_f32 v44, v72, v45, -v12
	v_mul_f32_e32 v64, v69, v47
	v_dual_mul_f32 v12, v69, v46 :: v_dual_mul_f32 v63, v75, v43
	s_delay_alu instid0(VALU_DEP_4)
	v_fma_f32 v43, v74, v43, -v10
	s_wait_dscnt 0x0
	v_mul_f32_e32 v10, v71, v48
	v_fmac_f32_e32 v64, v68, v46
	v_fma_f32 v46, v68, v47, -v12
	v_add_f32_e32 v12, v50, v52
	v_fmac_f32_e32 v54, v84, v18
	v_fma_f32 v47, v70, v49, -v10
	v_add_f32_e32 v18, v21, v11
	v_fmac_f32_e32 v56, v86, v28
	v_fma_f32 v10, -0.5, v12, v20
	v_fmac_f32_e32 v53, v90, v14
	v_add_f32_e32 v14, v20, v50
	v_dual_fmac_f32 v51, v88, v16 :: v_dual_sub_f32 v16, v11, v13
	v_add_f32_e32 v15, v11, v13
	v_add_f32_e32 v13, v18, v13
	s_delay_alu instid0(VALU_DEP_4) | instskip(NEXT) | instid1(VALU_DEP_4)
	v_add_f32_e32 v12, v14, v52
	v_add_f32_e32 v18, v22, v51
	v_fmamk_f32 v14, v16, 0xbf5db3d7, v10
	v_dual_fmac_f32 v10, 0x3f5db3d7, v16 :: v_dual_fmac_f32 v59, v82, v30
	v_dual_add_f32 v16, v51, v53 :: v_dual_fmac_f32 v61, v78, v40
	v_dual_sub_f32 v20, v17, v55 :: v_dual_sub_f32 v19, v50, v52
	v_sub_f32_e32 v30, v57, v29
	s_delay_alu instid0(VALU_DEP_3)
	v_fma_f32 v22, -0.5, v16, v22
	v_mul_f32_e32 v65, v71, v49
	v_add_f32_e32 v16, v18, v53
	v_fmac_f32_e32 v63, v74, v42
	v_add_f32_e32 v28, v24, v54
	v_fmamk_f32 v18, v20, 0xbf5db3d7, v22
	v_fmac_f32_e32 v22, 0x3f5db3d7, v20
	v_add_f32_e32 v20, v54, v56
	v_fma_f32 v11, -0.5, v15, v21
	v_fmac_f32_e32 v65, v70, v48
	v_sub_f32_e32 v21, v51, v53
	v_dual_add_f32 v33, v25, v57 :: v_dual_sub_f32 v40, v32, v31
	s_delay_alu instid0(VALU_DEP_4) | instskip(SKIP_4) | instid1(VALU_DEP_4)
	v_fmamk_f32 v15, v19, 0x3f5db3d7, v11
	v_fma_f32 v20, -0.5, v20, v24
	v_fmac_f32_e32 v11, 0xbf5db3d7, v19
	v_add_f32_e32 v19, v17, v55
	v_dual_add_f32 v17, v23, v17 :: v_dual_add_f32 v24, v28, v56
	v_fmamk_f32 v28, v30, 0xbf5db3d7, v20
	v_fmac_f32_e32 v20, 0x3f5db3d7, v30
	v_add_f32_e32 v30, v58, v59
	v_dual_fmac_f32 v23, -0.5, v19 :: v_dual_fmac_f32 v60, v76, v34
	v_sub_f32_e32 v34, v54, v56
	v_sub_f32_e32 v48, v35, v41
	v_dual_add_f32 v45, v35, v41 :: v_dual_sub_f32 v50, v62, v63
	s_delay_alu instid0(VALU_DEP_4) | instskip(SKIP_4) | instid1(VALU_DEP_3)
	v_fmamk_f32 v19, v21, 0x3f5db3d7, v23
	v_fmac_f32_e32 v23, 0xbf5db3d7, v21
	v_dual_add_f32 v21, v57, v29 :: v_dual_add_f32 v42, v36, v60
	v_sub_f32_e32 v49, v44, v43
	v_dual_sub_f32 v51, v46, v47 :: v_dual_add_f32 v52, v9, v46
	v_fma_f32 v21, -0.5, v21, v25
	v_add_f32_e32 v25, v33, v29
	v_add_f32_e32 v33, v26, v58
	v_fma_f32 v26, -0.5, v30, v26
	v_add_f32_e32 v17, v17, v55
	v_fmamk_f32 v29, v34, 0x3f5db3d7, v21
	v_dual_fmac_f32 v21, 0xbf5db3d7, v34 :: v_dual_add_f32 v34, v32, v31
	v_dual_add_f32 v30, v33, v59 :: v_dual_add_f32 v33, v27, v32
	v_fmamk_f32 v32, v40, 0xbf5db3d7, v26
	s_delay_alu instid0(VALU_DEP_3) | instskip(SKIP_1) | instid1(VALU_DEP_4)
	v_dual_fmac_f32 v26, 0x3f5db3d7, v40 :: v_dual_fmac_f32 v27, -0.5, v34
	v_sub_f32_e32 v34, v58, v59
	v_dual_add_f32 v40, v60, v61 :: v_dual_add_f32 v31, v33, v31
	v_sub_f32_e32 v53, v64, v65
	s_delay_alu instid0(VALU_DEP_3) | instskip(SKIP_1) | instid1(VALU_DEP_4)
	v_fmamk_f32 v33, v34, 0x3f5db3d7, v27
	v_fmac_f32_e32 v27, 0xbf5db3d7, v34
	v_fma_f32 v34, -0.5, v40, v36
	v_add_f32_e32 v36, v42, v61
	v_add_f32_e32 v42, v37, v35
	v_fma_f32 v35, -0.5, v45, v37
	v_sub_f32_e32 v45, v60, v61
	s_delay_alu instid0(VALU_DEP_3) | instskip(NEXT) | instid1(VALU_DEP_2)
	v_add_f32_e32 v37, v42, v41
	v_dual_add_f32 v42, v62, v63 :: v_dual_fmamk_f32 v41, v45, 0x3f5db3d7, v35
	v_fmamk_f32 v40, v48, 0xbf5db3d7, v34
	v_fmac_f32_e32 v34, 0x3f5db3d7, v48
	v_dual_add_f32 v48, v38, v62 :: v_dual_fmac_f32 v35, 0xbf5db3d7, v45
	s_delay_alu instid0(VALU_DEP_4) | instskip(SKIP_1) | instid1(VALU_DEP_3)
	v_fma_f32 v38, -0.5, v42, v38
	v_add_f32_e32 v45, v44, v43
	v_add_f32_e32 v42, v48, v63
	;; [unrolled: 1-line block ×3, first 2 shown]
	s_delay_alu instid0(VALU_DEP_4)
	v_fmamk_f32 v44, v49, 0xbf5db3d7, v38
	v_fmac_f32_e32 v38, 0x3f5db3d7, v49
	v_fmac_f32_e32 v39, -0.5, v45
	v_add_f32_e32 v49, v46, v47
	v_add_f32_e32 v43, v48, v43
	;; [unrolled: 1-line block ×4, first 2 shown]
	v_fmamk_f32 v45, v50, 0x3f5db3d7, v39
	v_dual_fmac_f32 v39, 0xbf5db3d7, v50 :: v_dual_add_f32 v50, v8, v64
	s_delay_alu instid0(VALU_DEP_4) | instskip(SKIP_1) | instid1(VALU_DEP_3)
	v_fma_f32 v8, -0.5, v48, v8
	v_fmac_f32_e32 v9, -0.5, v49
	v_add_f32_e32 v46, v50, v65
	s_delay_alu instid0(VALU_DEP_3)
	v_fmamk_f32 v48, v51, 0xbf5db3d7, v8
	v_fmac_f32_e32 v8, 0x3f5db3d7, v51
	v_add_nc_u32_e32 v50, 0x2800, v171
	v_fmamk_f32 v49, v53, 0x3f5db3d7, v9
	v_fmac_f32_e32 v9, 0xbf5db3d7, v53
	ds_store_b64 v171, v[14:15] offset:5096
	ds_store_b64 v171, v[10:11] offset:10192
	ds_store_2addr_b64 v171, v[12:13], v[16:17] offset1:91
	ds_store_2addr_b64 v3, v[18:19], v[28:29] offset0:88 offset1:179
	ds_store_2addr_b64 v50, v[22:23], v[20:21] offset0:85 offset1:176
	;; [unrolled: 1-line block ×4, first 2 shown]
	v_add_nc_u32_e32 v7, 0x3400, v171
	ds_store_2addr_b64 v2, v[26:27], v[34:35] offset0:11 offset1:102
	ds_store_2addr_b64 v5, v[36:37], v[42:43] offset0:108 offset1:199
	ds_store_b64 v171, v[46:47] offset:4368
	ds_store_2addr_b64 v6, v[44:45], v[48:49] offset0:68 offset1:159
	ds_store_2addr_b64 v7, v[38:39], v[8:9] offset0:65 offset1:156
	global_wb scope:SCOPE_SE
	s_wait_dscnt 0x0
	s_barrier_signal -1
	s_barrier_wait -1
	global_inv scope:SCOPE_SE
	ds_load_2addr_b64 v[6:9], v171 offset1:147
	v_mad_co_u64_u32 v[26:27], null, s4, v172, 0
	ds_load_b64 v[42:43], v171 offset:14112
	s_wait_dscnt 0x1
	v_mul_f32_e32 v10, v164, v7
	v_dual_mul_f32 v11, v164, v6 :: v_dual_mul_f32 v14, v166, v8
	s_wait_dscnt 0x0
	v_mul_f32_e32 v52, v156, v43
	v_mul_f32_e32 v53, v156, v42
	v_fmac_f32_e32 v10, v163, v6
	v_mul_f32_e32 v6, v166, v9
	v_fma_f32 v7, v163, v7, -v11
	v_fmac_f32_e32 v52, v155, v42
	v_fma_f32 v54, v155, v43, -v53
	v_cvt_f64_f32_e32 v[10:11], v10
	v_fmac_f32_e32 v6, v165, v8
	v_cvt_f64_f32_e32 v[12:13], v7
	v_fma_f32 v7, v165, v9, -v14
	v_cvt_f64_f32_e32 v[52:53], v52
	v_cvt_f64_f32_e32 v[54:55], v54
	;; [unrolled: 1-line block ×3, first 2 shown]
	s_delay_alu instid0(VALU_DEP_4) | instskip(SKIP_3) | instid1(VALU_DEP_1)
	v_cvt_f64_f32_e32 v[16:17], v7
	ds_load_2addr_b64 v[5:8], v5 offset0:38 offset1:185
	s_wait_dscnt 0x0
	v_mul_f32_e32 v9, v162, v6
	v_fmac_f32_e32 v9, v161, v5
	s_wait_alu 0xfffe
	v_mul_f64_e32 v[18:19], s[2:3], v[10:11]
	v_mul_f32_e32 v10, v162, v5
	v_mul_f64_e32 v[20:21], s[2:3], v[12:13]
	v_cvt_f64_f32_e32 v[22:23], v9
	v_mul_f64_e32 v[13:14], s[2:3], v[14:15]
	s_delay_alu instid0(VALU_DEP_4) | instskip(SKIP_2) | instid1(VALU_DEP_3)
	v_fma_f32 v10, v161, v6, -v10
	v_mul_f64_e32 v[5:6], s[2:3], v[16:17]
	v_mad_co_u64_u32 v[15:16], null, s6, v152, 0
	v_cvt_f64_f32_e32 v[24:25], v10
	s_delay_alu instid0(VALU_DEP_2) | instskip(NEXT) | instid1(VALU_DEP_1)
	v_dual_mov_b32 v10, v27 :: v_dual_mov_b32 v9, v16
	v_mad_co_u64_u32 v[27:28], null, s5, v172, v[10:11]
	s_delay_alu instid0(VALU_DEP_2)
	v_mad_co_u64_u32 v[16:17], null, s7, v152, v[9:10]
	ds_load_2addr_b64 v[9:12], v4 offset0:76 offset1:223
	v_add_nc_u32_e32 v4, 0x1a00, v171
	v_lshlrev_b64_e32 v[26:27], 3, v[26:27]
	s_mul_u64 s[6:7], s[4:5], 0x93
	s_wait_alu 0xfffe
	s_lshl_b64 s[6:7], s[6:7], 3
	v_cvt_f32_f64_e32 v17, v[18:19]
	v_cvt_f32_f64_e32 v18, v[20:21]
	v_lshlrev_b64_e32 v[19:20], 3, v[15:16]
	v_mul_f64_e32 v[21:22], s[2:3], v[22:23]
	v_cvt_f32_f64_e32 v28, v[13:14]
	ds_load_2addr_b64 v[13:16], v4 offset0:50 offset1:197
	v_cvt_f32_f64_e32 v29, v[5:6]
	v_mul_f32_e32 v4, v158, v7
	s_wait_dscnt 0x1
	v_dual_mul_f32 v6, v160, v10 :: v_dual_mul_f32 v5, v158, v8
	v_mul_f64_e32 v[23:24], s[2:3], v[24:25]
	s_delay_alu instid0(VALU_DEP_3) | instskip(NEXT) | instid1(VALU_DEP_3)
	v_fma_f32 v4, v157, v8, -v4
	v_dual_fmac_f32 v6, v159, v9 :: v_dual_fmac_f32 v5, v157, v7
	v_mul_f32_e32 v7, v160, v9
	s_delay_alu instid0(VALU_DEP_3) | instskip(NEXT) | instid1(VALU_DEP_3)
	v_cvt_f64_f32_e32 v[32:33], v4
	v_cvt_f64_f32_e32 v[34:35], v6
	s_delay_alu instid0(VALU_DEP_4) | instskip(NEXT) | instid1(VALU_DEP_4)
	v_cvt_f64_f32_e32 v[30:31], v5
	v_fma_f32 v8, v159, v10, -v7
	ds_load_2addr_b64 v[4:7], v1 offset0:24 offset1:171
	s_wait_dscnt 0x1
	v_dual_mul_f32 v1, v145, v11 :: v_dual_mul_f32 v40, v151, v16
	v_mul_f32_e32 v25, v145, v12
	s_delay_alu instid0(VALU_DEP_2)
	v_fma_f32 v1, v144, v12, -v1
	v_mul_f32_e32 v12, v151, v15
	v_cvt_f64_f32_e32 v[36:37], v8
	v_fmac_f32_e32 v40, v150, v15
	v_fmac_f32_e32 v25, v144, v11
	ds_load_2addr_b64 v[8:11], v0 offset0:62 offset1:209
	v_fma_f32 v16, v150, v16, -v12
	v_mul_f32_e32 v0, v149, v13
	v_cvt_f64_f32_e32 v[40:41], v40
	s_delay_alu instid0(VALU_DEP_3)
	v_cvt_f64_f32_e32 v[44:45], v16
	v_cvt_f32_f64_e32 v21, v[21:22]
	s_wait_dscnt 0x1
	v_mul_f32_e32 v16, v141, v5
	v_cvt_f64_f32_e32 v[38:39], v25
	v_dual_mul_f32 v25, v149, v14 :: v_dual_mul_f32 v46, v147, v7
	v_fma_f32 v14, v148, v14, -v0
	v_cvt_f64_f32_e32 v[0:1], v1
	v_fmac_f32_e32 v16, v140, v4
	s_delay_alu instid0(VALU_DEP_4) | instskip(NEXT) | instid1(VALU_DEP_4)
	v_dual_fmac_f32 v25, v148, v13 :: v_dual_fmac_f32 v46, v146, v6
	v_cvt_f64_f32_e32 v[14:15], v14
	v_cvt_f32_f64_e32 v22, v[23:24]
	s_wait_dscnt 0x0
	v_mul_f32_e32 v50, v143, v9
	v_cvt_f64_f32_e32 v[12:13], v25
	v_mul_f32_e32 v25, v141, v4
	s_delay_alu instid0(VALU_DEP_3) | instskip(SKIP_1) | instid1(VALU_DEP_3)
	v_dual_mul_f32 v47, v147, v6 :: v_dual_fmac_f32 v50, v142, v8
	v_mul_f32_e32 v8, v143, v8
	v_fma_f32 v25, v140, v5, -v25
	s_delay_alu instid0(VALU_DEP_3)
	v_fma_f32 v48, v146, v7, -v47
	v_cvt_f64_f32_e32 v[4:5], v16
	v_mul_f32_e32 v16, v154, v11
	v_cvt_f64_f32_e32 v[46:47], v46
	v_cvt_f64_f32_e32 v[6:7], v25
	v_mul_f32_e32 v25, v154, v10
	v_fma_f32 v8, v142, v9, -v8
	v_fmac_f32_e32 v16, v153, v10
	v_cvt_f64_f32_e32 v[48:49], v48
	v_cvt_f64_f32_e32 v[50:51], v50
	v_fma_f32 v25, v153, v11, -v25
	v_cvt_f64_f32_e32 v[8:9], v8
	v_cvt_f64_f32_e32 v[10:11], v16
	v_add_co_u32 v16, s0, s10, v19
	s_delay_alu instid0(VALU_DEP_4)
	v_cvt_f64_f32_e32 v[42:43], v25
	s_wait_alu 0xf1ff
	v_add_co_ci_u32_e64 v56, s0, s11, v20, s0
	v_mul_f64_e32 v[19:20], s[2:3], v[30:31]
	v_mul_f64_e32 v[30:31], s[2:3], v[32:33]
	v_mul_f64_e32 v[32:33], s[2:3], v[34:35]
	v_mul_f64_e32 v[34:35], s[2:3], v[36:37]
	v_mul_f64_e32 v[38:39], s[2:3], v[38:39]
	v_add_co_u32 v25, s0, v16, v26
	v_mul_f64_e32 v[0:1], s[2:3], v[0:1]
	s_wait_alu 0xf1ff
	v_add_co_ci_u32_e64 v26, s0, v56, v27, s0
	v_mul_f64_e32 v[14:15], s[2:3], v[14:15]
	s_wait_alu 0xfffe
	v_add_co_u32 v36, s0, v25, s6
	v_mul_f64_e32 v[12:13], s[2:3], v[12:13]
	s_wait_alu 0xf1ff
	v_add_co_ci_u32_e64 v37, s0, s7, v26, s0
	s_clause 0x1
	global_store_b64 v[25:26], v[17:18], off
	global_store_b64 v[36:37], v[28:29], off
	v_mul_f64_e32 v[16:17], s[2:3], v[40:41]
	v_mul_f64_e32 v[25:26], s[2:3], v[44:45]
	;; [unrolled: 1-line block ×3, first 2 shown]
	v_add_co_u32 v23, s0, v36, s6
	v_mul_f64_e32 v[6:7], s[2:3], v[6:7]
	v_mul_f64_e32 v[27:28], s[2:3], v[46:47]
	;; [unrolled: 1-line block ×3, first 2 shown]
	s_wait_alu 0xf1ff
	v_add_co_ci_u32_e64 v24, s0, s7, v37, s0
	v_mul_f64_e32 v[40:41], s[2:3], v[48:49]
	v_mul_f64_e32 v[44:45], s[2:3], v[50:51]
	;; [unrolled: 1-line block ×5, first 2 shown]
	v_add_co_u32 v29, s0, v23, s6
	v_mul_f64_e32 v[42:43], s[2:3], v[42:43]
	global_store_b64 v[23:24], v[21:22], off
	v_cvt_f32_f64_e32 v18, v[19:20]
	v_cvt_f32_f64_e32 v19, v[30:31]
	v_cvt_f32_f64_e32 v31, v[32:33]
	v_cvt_f32_f64_e32 v32, v[34:35]
	v_cvt_f32_f64_e32 v35, v[38:39]
	s_wait_alu 0xf1ff
	v_add_co_ci_u32_e64 v30, s0, s7, v24, s0
	v_cvt_f32_f64_e32 v36, v[0:1]
	v_add_co_u32 v33, s0, v29, s6
	v_cvt_f32_f64_e32 v1, v[14:15]
	s_wait_alu 0xf1ff
	v_add_co_ci_u32_e64 v34, s0, s7, v30, s0
	v_cvt_f32_f64_e32 v0, v[12:13]
	v_add_co_u32 v12, s0, v33, s6
	s_wait_alu 0xf1ff
	s_delay_alu instid0(VALU_DEP_3)
	v_add_co_ci_u32_e64 v13, s0, s7, v34, s0
	v_cvt_f32_f64_e32 v14, v[16:17]
	v_cvt_f32_f64_e32 v15, v[25:26]
	;; [unrolled: 1-line block ×3, first 2 shown]
	v_add_co_u32 v25, s0, v12, s6
	v_cvt_f32_f64_e32 v5, v[6:7]
	v_cvt_f32_f64_e32 v6, v[27:28]
	s_wait_alu 0xf1ff
	v_add_co_ci_u32_e64 v26, s0, s7, v13, s0
	v_add_co_u32 v20, s0, v25, s6
	v_cvt_f32_f64_e32 v7, v[40:41]
	v_cvt_f32_f64_e32 v16, v[44:45]
	;; [unrolled: 1-line block ×7, first 2 shown]
	s_wait_alu 0xf1ff
	v_add_co_ci_u32_e64 v21, s0, s7, v26, s0
	global_store_b64 v[29:30], v[18:19], off
	v_add_co_u32 v18, s0, v20, s6
	s_wait_alu 0xf1ff
	v_add_co_ci_u32_e64 v19, s0, s7, v21, s0
	global_store_b64 v[33:34], v[31:32], off
	v_add_co_u32 v22, s0, v18, s6
	;; [unrolled: 4-line block ×5, first 2 shown]
	s_wait_alu 0xf1ff
	v_add_co_ci_u32_e64 v1, s0, s7, v25, s0
	global_store_b64 v[18:19], v[4:5], off
	global_store_b64 v[22:23], v[6:7], off
	;; [unrolled: 1-line block ×5, first 2 shown]
	s_and_b32 exec_lo, exec_lo, vcc_lo
	s_cbranch_execz .LBB0_15
; %bb.14:
	global_load_b64 v[8:9], v[138:139], off offset:728
	ds_load_2addr_b64 v[4:7], v171 offset0:91 offset1:238
	v_mad_co_u64_u32 v[0:1], null, 0xffffcbb8, s4, v[0:1]
	s_mul_i32 s0, s5, 0xffffcbb8
	s_wait_alu 0xfffe
	s_sub_co_i32 s0, s0, s4
	s_wait_alu 0xfffe
	s_delay_alu instid0(VALU_DEP_1) | instskip(SKIP_3) | instid1(VALU_DEP_2)
	v_add_nc_u32_e32 v1, s0, v1
	s_wait_loadcnt_dscnt 0x0
	v_mul_f32_e32 v10, v5, v9
	v_mul_f32_e32 v9, v4, v9
	v_fmac_f32_e32 v10, v4, v8
	s_delay_alu instid0(VALU_DEP_2) | instskip(NEXT) | instid1(VALU_DEP_2)
	v_fma_f32 v8, v8, v5, -v9
	v_cvt_f64_f32_e32 v[4:5], v10
	s_delay_alu instid0(VALU_DEP_2) | instskip(NEXT) | instid1(VALU_DEP_2)
	v_cvt_f64_f32_e32 v[8:9], v8
	v_mul_f64_e32 v[4:5], s[2:3], v[4:5]
	s_delay_alu instid0(VALU_DEP_2) | instskip(NEXT) | instid1(VALU_DEP_2)
	v_mul_f64_e32 v[8:9], s[2:3], v[8:9]
	v_cvt_f32_f64_e32 v4, v[4:5]
	s_delay_alu instid0(VALU_DEP_2)
	v_cvt_f32_f64_e32 v5, v[8:9]
	global_store_b64 v[0:1], v[4:5], off
	global_load_b64 v[4:5], v[138:139], off offset:1904
	v_add_co_u32 v0, vcc_lo, v0, s6
	s_wait_alu 0xfffd
	v_add_co_ci_u32_e32 v1, vcc_lo, s7, v1, vcc_lo
	s_wait_loadcnt 0x0
	v_mul_f32_e32 v8, v7, v5
	v_mul_f32_e32 v5, v6, v5
	s_delay_alu instid0(VALU_DEP_2) | instskip(NEXT) | instid1(VALU_DEP_2)
	v_fmac_f32_e32 v8, v6, v4
	v_fma_f32 v6, v4, v7, -v5
	s_delay_alu instid0(VALU_DEP_2) | instskip(NEXT) | instid1(VALU_DEP_2)
	v_cvt_f64_f32_e32 v[4:5], v8
	v_cvt_f64_f32_e32 v[6:7], v6
	s_delay_alu instid0(VALU_DEP_2) | instskip(NEXT) | instid1(VALU_DEP_2)
	v_mul_f64_e32 v[4:5], s[2:3], v[4:5]
	v_mul_f64_e32 v[6:7], s[2:3], v[6:7]
	s_delay_alu instid0(VALU_DEP_2) | instskip(NEXT) | instid1(VALU_DEP_2)
	v_cvt_f32_f64_e32 v4, v[4:5]
	v_cvt_f32_f64_e32 v5, v[6:7]
	global_store_b64 v[0:1], v[4:5], off
	v_add_nc_u32_e32 v4, 0xc00, v171
	global_load_b64 v[8:9], v[138:139], off offset:3080
	v_add_co_u32 v0, vcc_lo, v0, s6
	s_wait_alu 0xfffd
	v_add_co_ci_u32_e32 v1, vcc_lo, s7, v1, vcc_lo
	ds_load_2addr_b64 v[4:7], v4 offset0:1 offset1:148
	s_wait_loadcnt_dscnt 0x0
	v_mul_f32_e32 v10, v5, v9
	v_mul_f32_e32 v9, v4, v9
	s_delay_alu instid0(VALU_DEP_2) | instskip(NEXT) | instid1(VALU_DEP_2)
	v_fmac_f32_e32 v10, v4, v8
	v_fma_f32 v8, v8, v5, -v9
	s_delay_alu instid0(VALU_DEP_2) | instskip(NEXT) | instid1(VALU_DEP_2)
	v_cvt_f64_f32_e32 v[4:5], v10
	v_cvt_f64_f32_e32 v[8:9], v8
	s_delay_alu instid0(VALU_DEP_2) | instskip(NEXT) | instid1(VALU_DEP_2)
	v_mul_f64_e32 v[4:5], s[2:3], v[4:5]
	v_mul_f64_e32 v[8:9], s[2:3], v[8:9]
	s_delay_alu instid0(VALU_DEP_2) | instskip(NEXT) | instid1(VALU_DEP_2)
	v_cvt_f32_f64_e32 v4, v[4:5]
	v_cvt_f32_f64_e32 v5, v[8:9]
	global_store_b64 v[0:1], v[4:5], off
	global_load_b64 v[4:5], v[138:139], off offset:4256
	v_add_co_u32 v0, vcc_lo, v0, s6
	s_wait_alu 0xfffd
	v_add_co_ci_u32_e32 v1, vcc_lo, s7, v1, vcc_lo
	s_wait_loadcnt 0x0
	v_mul_f32_e32 v8, v7, v5
	v_mul_f32_e32 v5, v6, v5
	s_delay_alu instid0(VALU_DEP_2) | instskip(NEXT) | instid1(VALU_DEP_2)
	v_fmac_f32_e32 v8, v6, v4
	v_fma_f32 v6, v4, v7, -v5
	s_delay_alu instid0(VALU_DEP_2) | instskip(NEXT) | instid1(VALU_DEP_2)
	v_cvt_f64_f32_e32 v[4:5], v8
	v_cvt_f64_f32_e32 v[6:7], v6
	s_delay_alu instid0(VALU_DEP_2) | instskip(NEXT) | instid1(VALU_DEP_2)
	v_mul_f64_e32 v[4:5], s[2:3], v[4:5]
	v_mul_f64_e32 v[6:7], s[2:3], v[6:7]
	s_delay_alu instid0(VALU_DEP_2) | instskip(NEXT) | instid1(VALU_DEP_2)
	v_cvt_f32_f64_e32 v4, v[4:5]
	v_cvt_f32_f64_e32 v5, v[6:7]
	global_store_b64 v[0:1], v[4:5], off
	global_load_b64 v[7:8], v[138:139], off offset:5432
	ds_load_2addr_b64 v[3:6], v3 offset0:39 offset1:186
	v_add_co_u32 v0, vcc_lo, v0, s6
	s_wait_alu 0xfffd
	v_add_co_ci_u32_e32 v1, vcc_lo, s7, v1, vcc_lo
	s_wait_loadcnt_dscnt 0x0
	v_mul_f32_e32 v9, v4, v8
	v_mul_f32_e32 v8, v3, v8
	s_delay_alu instid0(VALU_DEP_2) | instskip(NEXT) | instid1(VALU_DEP_2)
	v_fmac_f32_e32 v9, v3, v7
	v_fma_f32 v7, v7, v4, -v8
	s_delay_alu instid0(VALU_DEP_2) | instskip(NEXT) | instid1(VALU_DEP_2)
	v_cvt_f64_f32_e32 v[3:4], v9
	v_cvt_f64_f32_e32 v[7:8], v7
	s_delay_alu instid0(VALU_DEP_2) | instskip(NEXT) | instid1(VALU_DEP_2)
	v_mul_f64_e32 v[3:4], s[2:3], v[3:4]
	v_mul_f64_e32 v[7:8], s[2:3], v[7:8]
	s_delay_alu instid0(VALU_DEP_2) | instskip(NEXT) | instid1(VALU_DEP_2)
	v_cvt_f32_f64_e32 v3, v[3:4]
	v_cvt_f32_f64_e32 v4, v[7:8]
	global_store_b64 v[0:1], v[3:4], off
	global_load_b64 v[3:4], v[138:139], off offset:6608
	v_add_co_u32 v0, vcc_lo, v0, s6
	s_wait_alu 0xfffd
	v_add_co_ci_u32_e32 v1, vcc_lo, s7, v1, vcc_lo
	s_wait_loadcnt 0x0
	v_mul_f32_e32 v7, v6, v4
	v_mul_f32_e32 v4, v5, v4
	s_delay_alu instid0(VALU_DEP_2) | instskip(NEXT) | instid1(VALU_DEP_2)
	v_fmac_f32_e32 v7, v5, v3
	v_fma_f32 v5, v3, v6, -v4
	s_delay_alu instid0(VALU_DEP_2) | instskip(NEXT) | instid1(VALU_DEP_2)
	v_cvt_f64_f32_e32 v[3:4], v7
	v_cvt_f64_f32_e32 v[5:6], v5
	s_delay_alu instid0(VALU_DEP_2) | instskip(NEXT) | instid1(VALU_DEP_2)
	v_mul_f64_e32 v[3:4], s[2:3], v[3:4]
	v_mul_f64_e32 v[5:6], s[2:3], v[5:6]
	s_delay_alu instid0(VALU_DEP_2) | instskip(NEXT) | instid1(VALU_DEP_2)
	v_cvt_f32_f64_e32 v3, v[3:4]
	v_cvt_f32_f64_e32 v4, v[5:6]
	global_store_b64 v[0:1], v[3:4], off
	global_load_b64 v[7:8], v[138:139], off offset:7784
	v_add_nc_u32_e32 v3, 0x1c00, v171
	v_add_co_u32 v0, vcc_lo, v0, s6
	s_wait_alu 0xfffd
	v_add_co_ci_u32_e32 v1, vcc_lo, s7, v1, vcc_lo
	ds_load_2addr_b64 v[3:6], v3 offset0:77 offset1:224
	s_wait_loadcnt_dscnt 0x0
	v_mul_f32_e32 v9, v4, v8
	v_mul_f32_e32 v8, v3, v8
	s_delay_alu instid0(VALU_DEP_2) | instskip(NEXT) | instid1(VALU_DEP_2)
	v_fmac_f32_e32 v9, v3, v7
	v_fma_f32 v7, v7, v4, -v8
	s_delay_alu instid0(VALU_DEP_2) | instskip(NEXT) | instid1(VALU_DEP_2)
	v_cvt_f64_f32_e32 v[3:4], v9
	v_cvt_f64_f32_e32 v[7:8], v7
	s_delay_alu instid0(VALU_DEP_2) | instskip(NEXT) | instid1(VALU_DEP_2)
	v_mul_f64_e32 v[3:4], s[2:3], v[3:4]
	v_mul_f64_e32 v[7:8], s[2:3], v[7:8]
	s_delay_alu instid0(VALU_DEP_2) | instskip(NEXT) | instid1(VALU_DEP_2)
	v_cvt_f32_f64_e32 v3, v[3:4]
	v_cvt_f32_f64_e32 v4, v[7:8]
	global_store_b64 v[0:1], v[3:4], off
	global_load_b64 v[3:4], v[138:139], off offset:8960
	v_add_co_u32 v0, vcc_lo, v0, s6
	s_wait_alu 0xfffd
	v_add_co_ci_u32_e32 v1, vcc_lo, s7, v1, vcc_lo
	s_wait_loadcnt 0x0
	v_mul_f32_e32 v7, v6, v4
	v_mul_f32_e32 v4, v5, v4
	s_delay_alu instid0(VALU_DEP_2) | instskip(NEXT) | instid1(VALU_DEP_2)
	v_fmac_f32_e32 v7, v5, v3
	v_fma_f32 v5, v3, v6, -v4
	s_delay_alu instid0(VALU_DEP_2) | instskip(NEXT) | instid1(VALU_DEP_2)
	v_cvt_f64_f32_e32 v[3:4], v7
	v_cvt_f64_f32_e32 v[5:6], v5
	s_delay_alu instid0(VALU_DEP_2) | instskip(NEXT) | instid1(VALU_DEP_2)
	v_mul_f64_e32 v[3:4], s[2:3], v[3:4]
	v_mul_f64_e32 v[5:6], s[2:3], v[5:6]
	s_delay_alu instid0(VALU_DEP_2) | instskip(NEXT) | instid1(VALU_DEP_2)
	v_cvt_f32_f64_e32 v3, v[3:4]
	v_cvt_f32_f64_e32 v4, v[5:6]
	global_store_b64 v[0:1], v[3:4], off
	v_add_nc_u32_e32 v3, 0x2600, v171
	global_load_b64 v[7:8], v[138:139], off offset:10136
	v_add_co_u32 v0, vcc_lo, v0, s6
	s_wait_alu 0xfffd
	v_add_co_ci_u32_e32 v1, vcc_lo, s7, v1, vcc_lo
	ds_load_2addr_b64 v[3:6], v3 offset0:51 offset1:198
	s_wait_loadcnt_dscnt 0x0
	v_mul_f32_e32 v9, v4, v8
	v_mul_f32_e32 v8, v3, v8
	s_delay_alu instid0(VALU_DEP_2) | instskip(NEXT) | instid1(VALU_DEP_2)
	v_fmac_f32_e32 v9, v3, v7
	v_fma_f32 v7, v7, v4, -v8
	s_delay_alu instid0(VALU_DEP_2) | instskip(NEXT) | instid1(VALU_DEP_2)
	v_cvt_f64_f32_e32 v[3:4], v9
	v_cvt_f64_f32_e32 v[7:8], v7
	s_delay_alu instid0(VALU_DEP_2) | instskip(NEXT) | instid1(VALU_DEP_2)
	v_mul_f64_e32 v[3:4], s[2:3], v[3:4]
	v_mul_f64_e32 v[7:8], s[2:3], v[7:8]
	s_delay_alu instid0(VALU_DEP_2) | instskip(NEXT) | instid1(VALU_DEP_2)
	v_cvt_f32_f64_e32 v3, v[3:4]
	v_cvt_f32_f64_e32 v4, v[7:8]
	global_store_b64 v[0:1], v[3:4], off
	global_load_b64 v[3:4], v[138:139], off offset:11312
	s_wait_loadcnt 0x0
	v_mul_f32_e32 v7, v6, v4
	v_mul_f32_e32 v4, v5, v4
	s_delay_alu instid0(VALU_DEP_2) | instskip(NEXT) | instid1(VALU_DEP_2)
	v_fmac_f32_e32 v7, v5, v3
	v_fma_f32 v5, v3, v6, -v4
	s_delay_alu instid0(VALU_DEP_2) | instskip(NEXT) | instid1(VALU_DEP_2)
	v_cvt_f64_f32_e32 v[3:4], v7
	v_cvt_f64_f32_e32 v[5:6], v5
	s_delay_alu instid0(VALU_DEP_2) | instskip(NEXT) | instid1(VALU_DEP_2)
	v_mul_f64_e32 v[3:4], s[2:3], v[3:4]
	v_mul_f64_e32 v[5:6], s[2:3], v[5:6]
	s_delay_alu instid0(VALU_DEP_2) | instskip(NEXT) | instid1(VALU_DEP_2)
	v_cvt_f32_f64_e32 v3, v[3:4]
	v_cvt_f32_f64_e32 v4, v[5:6]
	v_add_co_u32 v5, vcc_lo, v0, s6
	s_wait_alu 0xfffd
	v_add_co_ci_u32_e32 v6, vcc_lo, s7, v1, vcc_lo
	global_store_b64 v[5:6], v[3:4], off
	global_load_b64 v[7:8], v[138:139], off offset:12488
	ds_load_2addr_b64 v[0:3], v2 offset0:25 offset1:172
	s_wait_loadcnt_dscnt 0x0
	v_mul_f32_e32 v4, v1, v8
	v_mul_f32_e32 v8, v0, v8
	s_delay_alu instid0(VALU_DEP_2) | instskip(NEXT) | instid1(VALU_DEP_2)
	v_fmac_f32_e32 v4, v0, v7
	v_fma_f32 v7, v7, v1, -v8
	s_delay_alu instid0(VALU_DEP_2) | instskip(NEXT) | instid1(VALU_DEP_2)
	v_cvt_f64_f32_e32 v[0:1], v4
	v_cvt_f64_f32_e32 v[7:8], v7
	v_add_co_u32 v4, vcc_lo, v5, s6
	s_wait_alu 0xfffd
	v_add_co_ci_u32_e32 v5, vcc_lo, s7, v6, vcc_lo
	s_delay_alu instid0(VALU_DEP_4) | instskip(NEXT) | instid1(VALU_DEP_4)
	v_mul_f64_e32 v[0:1], s[2:3], v[0:1]
	v_mul_f64_e32 v[7:8], s[2:3], v[7:8]
	s_delay_alu instid0(VALU_DEP_2) | instskip(NEXT) | instid1(VALU_DEP_2)
	v_cvt_f32_f64_e32 v0, v[0:1]
	v_cvt_f32_f64_e32 v1, v[7:8]
	global_store_b64 v[4:5], v[0:1], off
	global_load_b64 v[0:1], v[138:139], off offset:13664
	s_wait_loadcnt 0x0
	v_mul_f32_e32 v6, v3, v1
	v_mul_f32_e32 v1, v2, v1
	s_delay_alu instid0(VALU_DEP_2) | instskip(NEXT) | instid1(VALU_DEP_2)
	v_fmac_f32_e32 v6, v2, v0
	v_fma_f32 v2, v0, v3, -v1
	s_delay_alu instid0(VALU_DEP_2) | instskip(NEXT) | instid1(VALU_DEP_2)
	v_cvt_f64_f32_e32 v[0:1], v6
	v_cvt_f64_f32_e32 v[2:3], v2
	s_delay_alu instid0(VALU_DEP_2) | instskip(NEXT) | instid1(VALU_DEP_2)
	v_mul_f64_e32 v[0:1], s[2:3], v[0:1]
	v_mul_f64_e32 v[2:3], s[2:3], v[2:3]
	s_delay_alu instid0(VALU_DEP_2) | instskip(NEXT) | instid1(VALU_DEP_2)
	v_cvt_f32_f64_e32 v0, v[0:1]
	v_cvt_f32_f64_e32 v1, v[2:3]
	v_add_co_u32 v2, vcc_lo, v4, s6
	s_wait_alu 0xfffd
	v_add_co_ci_u32_e32 v3, vcc_lo, s7, v5, vcc_lo
	ds_load_b64 v[4:5], v171 offset:14840
	global_store_b64 v[2:3], v[0:1], off
	global_load_b64 v[0:1], v[138:139], off offset:14840
	v_add_co_u32 v2, vcc_lo, v2, s6
	s_wait_alu 0xfffd
	v_add_co_ci_u32_e32 v3, vcc_lo, s7, v3, vcc_lo
	s_wait_loadcnt_dscnt 0x0
	v_mul_f32_e32 v6, v5, v1
	v_mul_f32_e32 v1, v4, v1
	s_delay_alu instid0(VALU_DEP_2) | instskip(NEXT) | instid1(VALU_DEP_2)
	v_fmac_f32_e32 v6, v4, v0
	v_fma_f32 v4, v0, v5, -v1
	s_delay_alu instid0(VALU_DEP_2) | instskip(NEXT) | instid1(VALU_DEP_2)
	v_cvt_f64_f32_e32 v[0:1], v6
	v_cvt_f64_f32_e32 v[4:5], v4
	s_delay_alu instid0(VALU_DEP_2) | instskip(NEXT) | instid1(VALU_DEP_2)
	v_mul_f64_e32 v[0:1], s[2:3], v[0:1]
	v_mul_f64_e32 v[4:5], s[2:3], v[4:5]
	s_delay_alu instid0(VALU_DEP_2) | instskip(NEXT) | instid1(VALU_DEP_2)
	v_cvt_f32_f64_e32 v0, v[0:1]
	v_cvt_f32_f64_e32 v1, v[4:5]
	global_store_b64 v[2:3], v[0:1], off
.LBB0_15:
	s_nop 0
	s_sendmsg sendmsg(MSG_DEALLOC_VGPRS)
	s_endpgm
	.section	.rodata,"a",@progbits
	.p2align	6, 0x0
	.amdhsa_kernel bluestein_single_back_len1911_dim1_sp_op_CI_CI
		.amdhsa_group_segment_fixed_size 15288
		.amdhsa_private_segment_fixed_size 0
		.amdhsa_kernarg_size 104
		.amdhsa_user_sgpr_count 2
		.amdhsa_user_sgpr_dispatch_ptr 0
		.amdhsa_user_sgpr_queue_ptr 0
		.amdhsa_user_sgpr_kernarg_segment_ptr 1
		.amdhsa_user_sgpr_dispatch_id 0
		.amdhsa_user_sgpr_private_segment_size 0
		.amdhsa_wavefront_size32 1
		.amdhsa_uses_dynamic_stack 0
		.amdhsa_enable_private_segment 0
		.amdhsa_system_sgpr_workgroup_id_x 1
		.amdhsa_system_sgpr_workgroup_id_y 0
		.amdhsa_system_sgpr_workgroup_id_z 0
		.amdhsa_system_sgpr_workgroup_info 0
		.amdhsa_system_vgpr_workitem_id 0
		.amdhsa_next_free_vgpr 247
		.amdhsa_next_free_sgpr 16
		.amdhsa_reserve_vcc 1
		.amdhsa_float_round_mode_32 0
		.amdhsa_float_round_mode_16_64 0
		.amdhsa_float_denorm_mode_32 3
		.amdhsa_float_denorm_mode_16_64 3
		.amdhsa_fp16_overflow 0
		.amdhsa_workgroup_processor_mode 1
		.amdhsa_memory_ordered 1
		.amdhsa_forward_progress 0
		.amdhsa_round_robin_scheduling 0
		.amdhsa_exception_fp_ieee_invalid_op 0
		.amdhsa_exception_fp_denorm_src 0
		.amdhsa_exception_fp_ieee_div_zero 0
		.amdhsa_exception_fp_ieee_overflow 0
		.amdhsa_exception_fp_ieee_underflow 0
		.amdhsa_exception_fp_ieee_inexact 0
		.amdhsa_exception_int_div_zero 0
	.end_amdhsa_kernel
	.text
.Lfunc_end0:
	.size	bluestein_single_back_len1911_dim1_sp_op_CI_CI, .Lfunc_end0-bluestein_single_back_len1911_dim1_sp_op_CI_CI
                                        ; -- End function
	.section	.AMDGPU.csdata,"",@progbits
; Kernel info:
; codeLenInByte = 30252
; NumSgprs: 18
; NumVgprs: 247
; ScratchSize: 0
; MemoryBound: 0
; FloatMode: 240
; IeeeMode: 1
; LDSByteSize: 15288 bytes/workgroup (compile time only)
; SGPRBlocks: 2
; VGPRBlocks: 30
; NumSGPRsForWavesPerEU: 18
; NumVGPRsForWavesPerEU: 247
; Occupancy: 5
; WaveLimiterHint : 1
; COMPUTE_PGM_RSRC2:SCRATCH_EN: 0
; COMPUTE_PGM_RSRC2:USER_SGPR: 2
; COMPUTE_PGM_RSRC2:TRAP_HANDLER: 0
; COMPUTE_PGM_RSRC2:TGID_X_EN: 1
; COMPUTE_PGM_RSRC2:TGID_Y_EN: 0
; COMPUTE_PGM_RSRC2:TGID_Z_EN: 0
; COMPUTE_PGM_RSRC2:TIDIG_COMP_CNT: 0
	.text
	.p2alignl 7, 3214868480
	.fill 96, 4, 3214868480
	.type	__hip_cuid_d018a5f033e85dc5,@object ; @__hip_cuid_d018a5f033e85dc5
	.section	.bss,"aw",@nobits
	.globl	__hip_cuid_d018a5f033e85dc5
__hip_cuid_d018a5f033e85dc5:
	.byte	0                               ; 0x0
	.size	__hip_cuid_d018a5f033e85dc5, 1

	.ident	"AMD clang version 19.0.0git (https://github.com/RadeonOpenCompute/llvm-project roc-6.4.0 25133 c7fe45cf4b819c5991fe208aaa96edf142730f1d)"
	.section	".note.GNU-stack","",@progbits
	.addrsig
	.addrsig_sym __hip_cuid_d018a5f033e85dc5
	.amdgpu_metadata
---
amdhsa.kernels:
  - .args:
      - .actual_access:  read_only
        .address_space:  global
        .offset:         0
        .size:           8
        .value_kind:     global_buffer
      - .actual_access:  read_only
        .address_space:  global
        .offset:         8
        .size:           8
        .value_kind:     global_buffer
      - .actual_access:  read_only
        .address_space:  global
        .offset:         16
        .size:           8
        .value_kind:     global_buffer
      - .actual_access:  read_only
        .address_space:  global
        .offset:         24
        .size:           8
        .value_kind:     global_buffer
      - .actual_access:  read_only
        .address_space:  global
        .offset:         32
        .size:           8
        .value_kind:     global_buffer
      - .offset:         40
        .size:           8
        .value_kind:     by_value
      - .address_space:  global
        .offset:         48
        .size:           8
        .value_kind:     global_buffer
      - .address_space:  global
        .offset:         56
        .size:           8
        .value_kind:     global_buffer
      - .address_space:  global
        .offset:         64
        .size:           8
        .value_kind:     global_buffer
      - .address_space:  global
        .offset:         72
        .size:           8
        .value_kind:     global_buffer
      - .offset:         80
        .size:           4
        .value_kind:     by_value
      - .address_space:  global
        .offset:         88
        .size:           8
        .value_kind:     global_buffer
      - .address_space:  global
        .offset:         96
        .size:           8
        .value_kind:     global_buffer
    .group_segment_fixed_size: 15288
    .kernarg_segment_align: 8
    .kernarg_segment_size: 104
    .language:       OpenCL C
    .language_version:
      - 2
      - 0
    .max_flat_workgroup_size: 91
    .name:           bluestein_single_back_len1911_dim1_sp_op_CI_CI
    .private_segment_fixed_size: 0
    .sgpr_count:     18
    .sgpr_spill_count: 0
    .symbol:         bluestein_single_back_len1911_dim1_sp_op_CI_CI.kd
    .uniform_work_group_size: 1
    .uses_dynamic_stack: false
    .vgpr_count:     247
    .vgpr_spill_count: 0
    .wavefront_size: 32
    .workgroup_processor_mode: 1
amdhsa.target:   amdgcn-amd-amdhsa--gfx1201
amdhsa.version:
  - 1
  - 2
...

	.end_amdgpu_metadata
